;; amdgpu-corpus repo=ROCm/aiter kind=harvested arch=n/a opt=n/a

/root/src/amdgpu-assembly/repos/ROCm__aiter/hsa/gfx942/fmha_v3_fwd/MI308/fwd_hd128_bf16_rtne.co:	file format elf64-amdgpu

Disassembly of section .text:

0000000000003300 <_ZN5aiter24fmha_fwd_hd128_bf16_rtneE>:
	s_and_b32 s1, s1, 0xffff                                   // 000000003300: 8601FF01 0000FFFF
	s_load_dwordx2 s[20:21], s[0:1], 0x0                       // 000000003308: C0060500 00000000
	s_load_dwordx2 s[8:9], s[0:1], 0x10                        // 000000003310: C0060200 00000010
	s_load_dwordx2 s[12:13], s[0:1], 0x20                      // 000000003318: C0060300 00000020
	s_load_dwordx2 s[16:17], s[0:1], 0x30                      // 000000003320: C0060400 00000030
	s_load_dwordx2 s[24:25], s[0:1], 0x40                      // 000000003328: C0060600 00000040
	s_load_dword s28, s[0:1], 0x50                             // 000000003330: C0020700 00000050
	s_load_dword s30, s[0:1], 0x60                             // 000000003338: C0020780 00000060
	s_load_dword s62, s[0:1], 0x70                             // 000000003340: C0020F80 00000070
	s_load_dword s31, s[0:1], 0x80                             // 000000003348: C00207C0 00000080
	s_load_dword s32, s[0:1], 0x90                             // 000000003350: C0020800 00000090
	s_load_dword s33, s[0:1], 0xa0                             // 000000003358: C0020840 000000A0
	s_load_dword s46, s[0:1], 0xb0                             // 000000003360: C0020B80 000000B0
	s_load_dword s61, s[0:1], 0xc0                             // 000000003368: C0020F40 000000C0
	s_load_dword s47, s[0:1], 0xd0                             // 000000003370: C0020BC0 000000D0
	s_load_dword s48, s[0:1], 0xe0                             // 000000003378: C0020C00 000000E0
	s_load_dword s34, s[0:1], 0xf0                             // 000000003380: C0020880 000000F0
	s_load_dword s37, s[0:1], 0x100                            // 000000003388: C0020940 00000100
	s_load_dword s7, s[0:1], 0x110                             // 000000003390: C00201C0 00000110
	s_load_dword s96, s[0:1], 0x140                            // 000000003398: C0021800 00000140
	s_load_dword s80, s[0:1], 0x150                            // 0000000033A0: C0021400 00000150
	s_load_dword s81, s[0:1], 0x160                            // 0000000033A8: C0021440 00000160
	s_load_dword s82, s[0:1], 0x170                            // 0000000033B0: C0021480 00000170
	s_load_dword s83, s[0:1], 0x180                            // 0000000033B8: C00214C0 00000180
	s_load_dword s84, s[0:1], 0x190                            // 0000000033C0: C0021500 00000190
	s_load_dword s85, s[0:1], 0x1a0                            // 0000000033C8: C0021540 000001A0
	s_load_dwordx2 s[76:77], s[0:1], 0x1b0                     // 0000000033D0: C0061300 000001B0
	s_load_dwordx2 s[78:79], s[0:1], 0x1c0                     // 0000000033D8: C0061380 000001C0
	s_load_dword s86, s[0:1], 0x1d0                            // 0000000033E0: C0021580 000001D0
	s_load_dwordx2 s[88:89], s[0:1], 0x1e0                     // 0000000033E8: C0061600 000001E0
	s_load_dwordx2 s[90:91], s[0:1], 0x1f0                     // 0000000033F0: C0061680 000001F0
	v_lshrrev_b32_e32 v1, 10, v0                               // 0000000033F8: 2002008A
	v_lshrrev_b32_e32 v2, 10, v1                               // 0000000033FC: 2004028A
	v_and_b32_e32 v2, 0x3ff, v2                                // 000000003400: 260404FF 000003FF
	v_and_b32_e32 v1, 0x3ff, v1                                // 000000003408: 260202FF 000003FF
	v_and_b32_e32 v0, 0x3ff, v0                                // 000000003410: 260000FF 000003FF
	v_lshrrev_b32_e32 v3, 6, v0                                // 000000003418: 20060086
	v_and_b32_e32 v0, 63, v0                                   // 00000000341C: 260000BF
	s_mov_b32 s2, s2                                           // 000000003420: BE820002
	s_mov_b32 s3, s3                                           // 000000003424: BE830003
	s_mov_b32 s4, s4                                           // 000000003428: BE840004
	v_readfirstlane_b32 s5, v3                                 // 00000000342C: 7E0A0503
	s_waitcnt lgkmcnt(0)                                       // 000000003430: BF8CC07F
	s_mul_i32 s40, s30, s62                                    // 000000003434: 92283E1E
	s_mov_b32 s10, s40                                         // 000000003438: BE8A0028
	s_mul_i32 s40, s30, s83                                    // 00000000343C: 9228531E
	s_mov_b32 s22, s40                                         // 000000003440: BE960028
	s_mul_i32 s40, s7, s61                                     // 000000003444: 92283D07
	s_mov_b32 s14, s40                                         // 000000003448: BE8E0028
	s_mul_i32 s40, s7, s80                                     // 00000000344C: 92285007
	s_mov_b32 s18, s40                                         // 000000003450: BE920028
	s_mul_i32 s40, s30, 4                                      // 000000003454: 9228841E
	s_mov_b32 s26, s40                                         // 000000003458: BE9A0028
	s_mov_b32 s23, 0x20000                                     // 00000000345C: BE9700FF 00020000
	s_mov_b32 s11, 0x20000                                     // 000000003464: BE8B00FF 00020000
	s_mov_b32 s15, 0x20000                                     // 00000000346C: BE8F00FF 00020000
	s_mov_b32 s19, 0x20000                                     // 000000003474: BE9300FF 00020000
	s_mov_b32 s27, 0x20000                                     // 00000000347C: BE9B00FF 00020000
	s_and_b32 s21, s21, 0xffff                                 // 000000003484: 8615FF15 0000FFFF
	s_and_b32 s9, s9, 0xffff                                   // 00000000348C: 8609FF09 0000FFFF
	s_and_b32 s13, s13, 0xffff                                 // 000000003494: 860DFF0D 0000FFFF
	s_and_b32 s17, s17, 0xffff                                 // 00000000349C: 8611FF11 0000FFFF
	s_and_b32 s25, s25, 0xffff                                 // 0000000034A4: 8619FF19 0000FFFF
	s_nop 0                                                    // 0000000034AC: BF800000
	s_nop 0                                                    // 0000000034B0: BF800000
	s_mov_b32 s64, s3                                          // 0000000034B4: BEC00003
	s_mov_b32 s65, s46                                         // 0000000034B8: BEC1002E
	v_cvt_f32_u32_e32 v16, s65                                 // 0000000034BC: 7E200C41
	s_sub_i32 s40, 0, s65                                      // 0000000034C0: 81A84180
	v_rcp_iflag_f32_e32 v16, v16                               // 0000000034C4: 7E204710
	s_nop 0                                                    // 0000000034C8: BF800000
	v_mul_f32_e32 v16, 0x4f7ffffe, v16                         // 0000000034CC: 0A2020FF 4F7FFFFE
	v_cvt_u32_f32_e32 v16, v16                                 // 0000000034D4: 7E200F10
	v_mul_lo_u32 v17, s40, v16                                 // 0000000034D8: D2850011 00022028
	v_mul_hi_u32 v17, v16, v17                                 // 0000000034E0: D2860011 00022310
	v_add_u32_e32 v16, v16, v17                                // 0000000034E8: 68202310
	v_mul_hi_u32 v16, s64, v16                                 // 0000000034EC: D2860010 00022040
	v_mul_lo_u32 v17, v16, s65                                 // 0000000034F4: D2850011 00008310
	v_sub_u32_e32 v19, s64, v17                                // 0000000034FC: 6A262240
	v_add_u32_e32 v18, 1, v16                                  // 000000003500: 68242081
	v_cmp_le_u32_e32 vcc, s65, v19                             // 000000003504: 7D962641
	v_subrev_u32_e32 v17, s65, v19                             // 000000003508: 6C222641
	s_nop 0                                                    // 00000000350C: BF800000
	v_cndmask_b32_e32 v16, v16, v18, vcc                       // 000000003510: 00202510
	v_cndmask_b32_e32 v19, v19, v17, vcc                       // 000000003514: 00262313
	v_add_u32_e32 v17, 1, v16                                  // 000000003518: 68222081
	v_cmp_le_u32_e32 vcc, s65, v19                             // 00000000351C: 7D962641
	s_nop 1                                                    // 000000003520: BF800001
	v_cndmask_b32_e32 v19, v16, v17, vcc                       // 000000003524: 00262310
	s_nop 3                                                    // 000000003528: BF800003
	v_readfirstlane_b32 s66, v19                               // 00000000352C: 7E840513
	s_nop 3                                                    // 000000003530: BF800003
	s_mov_b32 s49, 0x7060302                                   // 000000003534: BEB100FF 07060302
	s_mov_b32 s50, 0x5040100                                   // 00000000353C: BEB200FF 05040100
	v_mov_b32_e32 v41, 0xffff0000                              // 000000003544: 7E5202FF FFFF0000
	v_mov_b32_e32 v42, 0x7fff0000                              // 00000000354C: 7E5402FF 7FFF0000
	v_mov_b32_e32 v43, 0x7fff                                  // 000000003554: 7E5602FF 00007FFF
	v_lshrrev_b32_e32 v16, 5, v0                               // 00000000355C: 20200085
	v_sub_u32_e32 v16, 1, v16                                  // 000000003560: 6A202081
	v_mul_i32_i24_e32 v32, 0x80, v16                           // 000000003564: 0C4020FF 00000080
	v_and_b32_e32 v16, 31, v0                                  // 00000000356C: 2620009F
	v_mul_i32_i24_e32 v16, 4, v16                              // 000000003570: 0C202084
	v_add_u32_e32 v32, v16, v32                                // 000000003574: 68404110
	s_mov_b32 s60, 0                                           // 000000003578: BEBC0080
	s_mov_b32 s35, 0                                           // 00000000357C: BEA30080
	s_mul_i32 s43, 32, s61                                     // 000000003580: 922B3DA0
	s_mul_i32 s44, 32, s80                                     // 000000003584: 922C50A0
	s_mul_i32 s40, s4, s33                                     // 000000003588: 92282104
	s_mul_hi_u32 s42, s4, s33                                  // 00000000358C: 962A2104
	s_and_b32 s42, s42, 0xffff                                 // 000000003590: 862AFF2A 0000FFFF
	s_mul_i32 s41, s3, s32                                     // 000000003598: 92292003
	s_add_u32 s40, s40, s41                                    // 00000000359C: 80282928
	s_add_u32 s8, s40, s8                                      // 0000000035A0: 80080828
	s_addc_u32 s9, s42, s9                                     // 0000000035A4: 8209092A
	s_mul_i32 s40, s4, s85                                     // 0000000035A8: 92285504
	s_mul_hi_u32 s42, s4, s85                                  // 0000000035AC: 962A5504
	s_and_b32 s42, s42, 0xffff                                 // 0000000035B0: 862AFF2A 0000FFFF
	s_mul_i32 s41, s3, s84                                     // 0000000035B8: 92295403
	s_add_u32 s40, s40, s41                                    // 0000000035BC: 80282928
	s_add_u32 s20, s40, s20                                    // 0000000035C0: 80141428
	s_addc_u32 s21, s42, s21                                   // 0000000035C4: 8215152A
	s_mul_i32 s40, s96, s86                                    // 0000000035C8: 92285660
	s_mul_i32 s40, s4, s40                                     // 0000000035CC: 92282804
	s_mul_i32 s41, s3, s86                                     // 0000000035D0: 92295603
	s_nop 0                                                    // 0000000035D4: BF800000
	s_add_i32 s40, s40, s41                                    // 0000000035D8: 81282928
	s_add_u32 s24, s40, s24                                    // 0000000035DC: 80181828
	s_addc_u32 s25, 0, s25                                     // 0000000035E0: 82191980
	s_mul_i32 s40, s4, s48                                     // 0000000035E4: 92283004
	s_mul_hi_u32 s42, s4, s48                                  // 0000000035E8: 962A3004
	s_and_b32 s42, s42, 0xffff                                 // 0000000035EC: 862AFF2A 0000FFFF
	s_mul_i32 s41, s66, s47                                    // 0000000035F4: 92292F42
	s_add_u32 s40, s40, s41                                    // 0000000035F8: 80282928
	s_add_u32 s12, s40, s12                                    // 0000000035FC: 800C0C28
	s_addc_u32 s13, s42, s13                                   // 000000003600: 820D0D2A
	s_mul_i32 s40, s4, s82                                     // 000000003604: 92285204
	s_mul_hi_u32 s42, s4, s82                                  // 000000003608: 962A5204
	s_and_b32 s42, s42, 0xffff                                 // 00000000360C: 862AFF2A 0000FFFF
	s_mul_i32 s41, s66, s81                                    // 000000003614: 92295142
	s_add_u32 s40, s40, s41                                    // 000000003618: 80282928
	s_add_u32 s16, s40, s16                                    // 00000000361C: 80101028
	s_addc_u32 s17, s42, s17                                   // 000000003620: 8211112A
	s_mov_b32 s52, 0                                           // 000000003624: BEB40080
	s_mov_b32 s53, 32                                          // 000000003628: BEB500A0
	s_mov_b32 s36, 0                                           // 00000000362C: BEA40080
	s_mov_b32 s29, 0x3fb8aa3b                                  // 000000003630: BE9D00FF 3FB8AA3B
	v_mov_b32_e32 v31, 0xff800000                              // 000000003638: 7E3E02FF FF800000
	s_mov_b32 s59, 0                                           // 000000003640: BEBB0080
	s_lshr_b32 s54, s7, 5                                      // 000000003644: 8F368507
	s_lshl_b32 s54, s54, 5                                     // 000000003648: 8E368536
	v_lshrrev_b32_e32 v16, 5, v0                               // 00000000364C: 20200085
	v_mul_i32_i24_e32 v30, 4, v16                              // 000000003650: 0C3C2084
	s_mov_b32 s38, s7                                          // 000000003654: BEA60007
	s_nop 0                                                    // 000000003658: BF800000
	s_mov_b32 s39, 0                                           // 00000000365C: BEA70080
	v_mov_b32_e32 v17, s29                                     // 000000003660: 7E22021D
	v_mov_b32_e32 v16, s28                                     // 000000003664: 7E20021C
	v_mul_f32_e32 v16, s29, v16                                // 000000003668: 0A20201D
	v_rcp_f32_e32 v17, v17                                     // 00000000366C: 7E224511
	v_mov_b32_e32 v22, 0                                       // 000000003670: 7E2C0280
	v_mov_b32_e32 v28, 0xff7fffff                              // 000000003674: 7E3802FF FF7FFFFF
	v_mov_b32_e32 v20, 0                                       // 00000000367C: 7E280280
	v_mov_b32_e32 v22, 0                                       // 000000003680: 7E2C0280
	v_readfirstlane_b32 s56, v16                               // 000000003684: 7E700510
	v_readfirstlane_b32 s45, v17                               // 000000003688: 7E5A0511
	v_rcp_f32_e32 v16, v16                                     // 00000000368C: 7E204510
	s_nop 1                                                    // 000000003690: BF800001
	v_mul_f32_e32 v16, v28, v16                                // 000000003694: 0A20211C
	v_max_f32_e32 v28, v28, v16                                // 000000003698: 1638211C
	s_mul_i32 s63, s2, s31                                     // 00000000369C: 923F1F02
	v_lshlrev_b32_e32 v8, 2, v0                                // 0000000036A0: 24100082
	s_mul_i32 s40, s5, s62                                     // 0000000036A4: 92283E05
	v_add_u32_e32 v8, s40, v8                                  // 0000000036A8: 68101028
	s_mul_i32 s41, 8, s62                                      // 0000000036AC: 92293E88
	v_add_u32_e32 v9, s41, v8                                  // 0000000036B0: 68121029
	v_add_u32_e32 v10, s41, v9                                 // 0000000036B4: 68141229
	v_add_u32_e32 v11, s41, v10                                // 0000000036B8: 68161429
	v_add_u32_e32 v8, s63, v8                                  // 0000000036BC: 6810103F
	v_add_u32_e32 v9, s63, v9                                  // 0000000036C0: 6812123F
	v_add_u32_e32 v10, s63, v10                                // 0000000036C4: 6814143F
	v_add_u32_e32 v11, s63, v11                                // 0000000036C8: 6816163F
	s_mul_i32 s40, s5, 0x110                                   // 0000000036CC: 9228FF05 00000110
	s_add_u32 s58, 0x4400, s40                                 // 0000000036D4: 803A28FF 00004400
	s_mov_b32 s57, s56                                         // 0000000036DC: BEB90038
	s_mov_b32 s40, 0                                           // 0000000036E0: BEA80080
	s_add_u32 m0, s40, s58                                     // 0000000036E4: 807C3A28
	s_mul_i32 s40, 0, s62                                      // 0000000036E8: 92283E80
	v_add_u32_e32 v4, s40, v8                                  // 0000000036EC: 68081028
	v_add_u32_e32 v5, s40, v9                                  // 0000000036F0: 680A1228
	v_add_u32_e32 v6, s40, v10                                 // 0000000036F4: 680C1428
	v_add_u32_e32 v7, s40, v11                                 // 0000000036F8: 680E1628
	buffer_load_dword v4, s[8:11], s59 offen lds               // 0000000036FC: E0511000 3B020004
	s_add_u32 m0, 0x880, m0                                    // 000000003704: 807C7CFF 00000880
	buffer_load_dword v5, s[8:11], s59 offen lds               // 00000000370C: E0511000 3B020005
	s_add_u32 m0, 0x880, m0                                    // 000000003714: 807C7CFF 00000880
	buffer_load_dword v6, s[8:11], s59 offen lds               // 00000000371C: E0511000 3B020006
	s_add_u32 m0, 0x880, m0                                    // 000000003724: 807C7CFF 00000880
	buffer_load_dword v7, s[8:11], s59 offen lds               // 00000000372C: E0511000 3B020007
	s_add_u32 m0, 0x880, m0                                    // 000000003734: 807C7CFF 00000880
	s_mov_b32 s40, 0x2200                                      // 00000000373C: BEA800FF 00002200
	s_add_u32 m0, s40, s58                                     // 000000003744: 807C3A28
	s_mul_i32 s40, 32, s62                                     // 000000003748: 92283EA0
	v_add_u32_e32 v4, s40, v8                                  // 00000000374C: 68081028
	v_add_u32_e32 v5, s40, v9                                  // 000000003750: 680A1228
	v_add_u32_e32 v6, s40, v10                                 // 000000003754: 680C1428
	v_add_u32_e32 v7, s40, v11                                 // 000000003758: 680E1628
	buffer_load_dword v4, s[8:11], s59 offen lds               // 00000000375C: E0511000 3B020004
	s_add_u32 m0, 0x880, m0                                    // 000000003764: 807C7CFF 00000880
	buffer_load_dword v5, s[8:11], s59 offen lds               // 00000000376C: E0511000 3B020005
	s_add_u32 m0, 0x880, m0                                    // 000000003774: 807C7CFF 00000880
	buffer_load_dword v6, s[8:11], s59 offen lds               // 00000000377C: E0511000 3B020006
	s_add_u32 m0, 0x880, m0                                    // 000000003784: 807C7CFF 00000880
	buffer_load_dword v7, s[8:11], s59 offen lds               // 00000000378C: E0511000 3B020007
	s_add_u32 m0, 0x880, m0                                    // 000000003794: 807C7CFF 00000880
	s_mov_b32 s40, 0x4400                                      // 00000000379C: BEA800FF 00004400
	s_add_u32 m0, s40, s58                                     // 0000000037A4: 807C3A28
	s_mul_i32 s40, 64, s62                                     // 0000000037A8: 92283EC0
	v_add_u32_e32 v4, s40, v8                                  // 0000000037AC: 68081028
	v_add_u32_e32 v5, s40, v9                                  // 0000000037B0: 680A1228
	v_add_u32_e32 v6, s40, v10                                 // 0000000037B4: 680C1428
	v_add_u32_e32 v7, s40, v11                                 // 0000000037B8: 680E1628
	buffer_load_dword v4, s[8:11], s59 offen lds               // 0000000037BC: E0511000 3B020004
	s_add_u32 m0, 0x880, m0                                    // 0000000037C4: 807C7CFF 00000880
	buffer_load_dword v5, s[8:11], s59 offen lds               // 0000000037CC: E0511000 3B020005
	s_add_u32 m0, 0x880, m0                                    // 0000000037D4: 807C7CFF 00000880
	buffer_load_dword v6, s[8:11], s59 offen lds               // 0000000037DC: E0511000 3B020006
	s_add_u32 m0, 0x880, m0                                    // 0000000037E4: 807C7CFF 00000880
	buffer_load_dword v7, s[8:11], s59 offen lds               // 0000000037EC: E0511000 3B020007
	s_add_u32 m0, 0x880, m0                                    // 0000000037F4: 807C7CFF 00000880
	s_mov_b32 s40, 0x6600                                      // 0000000037FC: BEA800FF 00006600
	s_add_u32 m0, s40, s58                                     // 000000003804: 807C3A28
	s_mul_i32 s40, 0x60, s62                                   // 000000003808: 92283EFF 00000060
	v_add_u32_e32 v4, s40, v8                                  // 000000003810: 68081028
	v_add_u32_e32 v5, s40, v9                                  // 000000003814: 680A1228
	v_add_u32_e32 v6, s40, v10                                 // 000000003818: 680C1428
	v_add_u32_e32 v7, s40, v11                                 // 00000000381C: 680E1628
	buffer_load_dword v4, s[8:11], s59 offen lds               // 000000003820: E0511000 3B020004
	s_add_u32 m0, 0x880, m0                                    // 000000003828: 807C7CFF 00000880
	buffer_load_dword v5, s[8:11], s59 offen lds               // 000000003830: E0511000 3B020005
	s_add_u32 m0, 0x880, m0                                    // 000000003838: 807C7CFF 00000880
	buffer_load_dword v6, s[8:11], s59 offen lds               // 000000003840: E0511000 3B020006
	s_add_u32 m0, 0x880, m0                                    // 000000003848: 807C7CFF 00000880
	buffer_load_dword v7, s[8:11], s59 offen lds               // 000000003850: E0511000 3B020007
	s_add_u32 m0, 0x880, m0                                    // 000000003858: 807C7CFF 00000880
	v_mov_b32_e32 v96, 0                                       // 000000003860: 7EC00280
	v_mov_b32_e32 v97, 0                                       // 000000003864: 7EC20280
	v_mov_b32_e32 v98, 0                                       // 000000003868: 7EC40280
	v_mov_b32_e32 v99, 0                                       // 00000000386C: 7EC60280
	v_mov_b32_e32 v100, 0                                      // 000000003870: 7EC80280
	v_mov_b32_e32 v101, 0                                      // 000000003874: 7ECA0280
	v_mov_b32_e32 v102, 0                                      // 000000003878: 7ECC0280
	v_mov_b32_e32 v103, 0                                      // 00000000387C: 7ECE0280
	v_mov_b32_e32 v104, 0                                      // 000000003880: 7ED00280
	v_mov_b32_e32 v105, 0                                      // 000000003884: 7ED20280
	v_mov_b32_e32 v106, 0                                      // 000000003888: 7ED40280
	v_mov_b32_e32 v107, 0                                      // 00000000388C: 7ED60280
	v_mov_b32_e32 v108, 0                                      // 000000003890: 7ED80280
	v_mov_b32_e32 v109, 0                                      // 000000003894: 7EDA0280
	v_mov_b32_e32 v110, 0                                      // 000000003898: 7EDC0280
	v_mov_b32_e32 v111, 0                                      // 00000000389C: 7EDE0280
	v_mov_b32_e32 v112, 0                                      // 0000000038A0: 7EE00280
	v_mov_b32_e32 v113, 0                                      // 0000000038A4: 7EE20280
	v_mov_b32_e32 v114, 0                                      // 0000000038A8: 7EE40280
	v_mov_b32_e32 v115, 0                                      // 0000000038AC: 7EE60280
	v_mov_b32_e32 v116, 0                                      // 0000000038B0: 7EE80280
	v_mov_b32_e32 v117, 0                                      // 0000000038B4: 7EEA0280
	v_mov_b32_e32 v118, 0                                      // 0000000038B8: 7EEC0280
	v_mov_b32_e32 v119, 0                                      // 0000000038BC: 7EEE0280
	v_mov_b32_e32 v120, 0                                      // 0000000038C0: 7EF00280
	v_mov_b32_e32 v121, 0                                      // 0000000038C4: 7EF20280
	v_mov_b32_e32 v122, 0                                      // 0000000038C8: 7EF40280
	v_mov_b32_e32 v123, 0                                      // 0000000038CC: 7EF60280
	v_mov_b32_e32 v124, 0                                      // 0000000038D0: 7EF80280
	v_mov_b32_e32 v125, 0                                      // 0000000038D4: 7EFA0280
	v_mov_b32_e32 v126, 0                                      // 0000000038D8: 7EFC0280
	v_mov_b32_e32 v127, 0                                      // 0000000038DC: 7EFE0280
	v_lshrrev_b32_e32 v16, 5, v0                               // 0000000038E0: 20200085
	v_mul_i32_i24_e32 v17, 4, v16                              // 0000000038E4: 0C222084
	v_and_b32_e32 v16, 31, v0                                  // 0000000038E8: 2620009F
	v_mul_i32_i24_e32 v2, 0x44, v16                            // 0000000038EC: 0C0420FF 00000044
	v_add_u32_e32 v2, v2, v17                                  // 0000000038F4: 68042302
	v_lshlrev_b32_e32 v2, 2, v2                                // 0000000038F8: 24040482
	s_and_b32 s40, 3, s5                                       // 0000000038FC: 86280583
	s_mul_i32 s40, s40, 0x2200                                 // 000000003900: 9228FF28 00002200
	v_add_u32_e32 v2, s40, v2                                  // 000000003908: 68040428
	s_waitcnt vmcnt(0) expcnt(0) lgkmcnt(0)                    // 00000000390C: BF8C0000
	s_barrier                                                  // 000000003910: BF8A0000
	s_cmp_lt_i32 s5, 4                                         // 000000003914: BF048405
	s_cbranch_scc0 label_0197                                  // 000000003918: BF840010
	ds_read_b128 v[160:163], v2 offset:17408                   // 00000000391C: D9FE4400 A0000002
	ds_read_b128 v[164:167], v2 offset:17440                   // 000000003924: D9FE4420 A4000002
	ds_read_b128 v[168:171], v2 offset:17472                   // 00000000392C: D9FE4440 A8000002
	ds_read_b128 v[172:175], v2 offset:17504                   // 000000003934: D9FE4460 AC000002
	ds_read_b128 v[176:179], v2 offset:17536                   // 00000000393C: D9FE4480 B0000002
	ds_read_b128 v[180:183], v2 offset:17568                   // 000000003944: D9FE44A0 B4000002
	ds_read_b128 v[184:187], v2 offset:17600                   // 00000000394C: D9FE44C0 B8000002
	ds_read_b128 v[188:191], v2 offset:17632                   // 000000003954: D9FE44E0 BC000002

000000000000395c <label_0197>:
	s_waitcnt vmcnt(0) expcnt(0) lgkmcnt(0)                    // 00000000395C: BF8C0000
	s_barrier                                                  // 000000003960: BF8A0000
	s_mov_b32 s40, 0                                           // 000000003964: BEA80080
	s_add_u32 m0, s40, s58                                     // 000000003968: 807C3A28
	s_mul_i32 s40, 0x80, s62                                   // 00000000396C: 92283EFF 00000080
	v_add_u32_e32 v4, s40, v8                                  // 000000003974: 68081028
	v_add_u32_e32 v5, s40, v9                                  // 000000003978: 680A1228
	v_add_u32_e32 v6, s40, v10                                 // 00000000397C: 680C1428
	v_add_u32_e32 v7, s40, v11                                 // 000000003980: 680E1628
	buffer_load_dword v4, s[8:11], s59 offen lds               // 000000003984: E0511000 3B020004
	s_add_u32 m0, 0x880, m0                                    // 00000000398C: 807C7CFF 00000880
	buffer_load_dword v5, s[8:11], s59 offen lds               // 000000003994: E0511000 3B020005
	s_add_u32 m0, 0x880, m0                                    // 00000000399C: 807C7CFF 00000880
	buffer_load_dword v6, s[8:11], s59 offen lds               // 0000000039A4: E0511000 3B020006
	s_add_u32 m0, 0x880, m0                                    // 0000000039AC: 807C7CFF 00000880
	buffer_load_dword v7, s[8:11], s59 offen lds               // 0000000039B4: E0511000 3B020007
	s_add_u32 m0, 0x880, m0                                    // 0000000039BC: 807C7CFF 00000880
	s_mov_b32 s40, 0x2200                                      // 0000000039C4: BEA800FF 00002200
	s_add_u32 m0, s40, s58                                     // 0000000039CC: 807C3A28
	s_mul_i32 s40, 0xa0, s62                                   // 0000000039D0: 92283EFF 000000A0
	v_add_u32_e32 v4, s40, v8                                  // 0000000039D8: 68081028
	v_add_u32_e32 v5, s40, v9                                  // 0000000039DC: 680A1228
	v_add_u32_e32 v6, s40, v10                                 // 0000000039E0: 680C1428
	v_add_u32_e32 v7, s40, v11                                 // 0000000039E4: 680E1628
	buffer_load_dword v4, s[8:11], s59 offen lds               // 0000000039E8: E0511000 3B020004
	s_add_u32 m0, 0x880, m0                                    // 0000000039F0: 807C7CFF 00000880
	buffer_load_dword v5, s[8:11], s59 offen lds               // 0000000039F8: E0511000 3B020005
	s_add_u32 m0, 0x880, m0                                    // 000000003A00: 807C7CFF 00000880
	buffer_load_dword v6, s[8:11], s59 offen lds               // 000000003A08: E0511000 3B020006
	s_add_u32 m0, 0x880, m0                                    // 000000003A10: 807C7CFF 00000880
	buffer_load_dword v7, s[8:11], s59 offen lds               // 000000003A18: E0511000 3B020007
	s_add_u32 m0, 0x880, m0                                    // 000000003A20: 807C7CFF 00000880
	s_mov_b32 s40, 0x4400                                      // 000000003A28: BEA800FF 00004400
	s_add_u32 m0, s40, s58                                     // 000000003A30: 807C3A28
	s_mul_i32 s40, 0xc0, s62                                   // 000000003A34: 92283EFF 000000C0
	v_add_u32_e32 v4, s40, v8                                  // 000000003A3C: 68081028
	v_add_u32_e32 v5, s40, v9                                  // 000000003A40: 680A1228
	v_add_u32_e32 v6, s40, v10                                 // 000000003A44: 680C1428
	v_add_u32_e32 v7, s40, v11                                 // 000000003A48: 680E1628
	buffer_load_dword v4, s[8:11], s59 offen lds               // 000000003A4C: E0511000 3B020004
	s_add_u32 m0, 0x880, m0                                    // 000000003A54: 807C7CFF 00000880
	buffer_load_dword v5, s[8:11], s59 offen lds               // 000000003A5C: E0511000 3B020005
	s_add_u32 m0, 0x880, m0                                    // 000000003A64: 807C7CFF 00000880
	buffer_load_dword v6, s[8:11], s59 offen lds               // 000000003A6C: E0511000 3B020006
	s_add_u32 m0, 0x880, m0                                    // 000000003A74: 807C7CFF 00000880
	buffer_load_dword v7, s[8:11], s59 offen lds               // 000000003A7C: E0511000 3B020007
	s_add_u32 m0, 0x880, m0                                    // 000000003A84: 807C7CFF 00000880
	s_mov_b32 s40, 0x6600                                      // 000000003A8C: BEA800FF 00006600
	s_add_u32 m0, s40, s58                                     // 000000003A94: 807C3A28
	s_mul_i32 s40, 0xe0, s62                                   // 000000003A98: 92283EFF 000000E0
	v_add_u32_e32 v4, s40, v8                                  // 000000003AA0: 68081028
	v_add_u32_e32 v5, s40, v9                                  // 000000003AA4: 680A1228
	v_add_u32_e32 v6, s40, v10                                 // 000000003AA8: 680C1428
	v_add_u32_e32 v7, s40, v11                                 // 000000003AAC: 680E1628
	buffer_load_dword v4, s[8:11], s59 offen lds               // 000000003AB0: E0511000 3B020004
	s_add_u32 m0, 0x880, m0                                    // 000000003AB8: 807C7CFF 00000880
	buffer_load_dword v5, s[8:11], s59 offen lds               // 000000003AC0: E0511000 3B020005
	s_add_u32 m0, 0x880, m0                                    // 000000003AC8: 807C7CFF 00000880
	buffer_load_dword v6, s[8:11], s59 offen lds               // 000000003AD0: E0511000 3B020006
	s_add_u32 m0, 0x880, m0                                    // 000000003AD8: 807C7CFF 00000880
	buffer_load_dword v7, s[8:11], s59 offen lds               // 000000003AE0: E0511000 3B020007
	s_add_u32 m0, 0x880, m0                                    // 000000003AE8: 807C7CFF 00000880
	v_mov_b32_e32 v128, 0                                      // 000000003AF0: 7F000280
	v_mov_b32_e32 v129, 0                                      // 000000003AF4: 7F020280
	v_mov_b32_e32 v130, 0                                      // 000000003AF8: 7F040280
	v_mov_b32_e32 v131, 0                                      // 000000003AFC: 7F060280
	v_mov_b32_e32 v132, 0                                      // 000000003B00: 7F080280
	v_mov_b32_e32 v133, 0                                      // 000000003B04: 7F0A0280
	v_mov_b32_e32 v134, 0                                      // 000000003B08: 7F0C0280
	v_mov_b32_e32 v135, 0                                      // 000000003B0C: 7F0E0280
	v_mov_b32_e32 v136, 0                                      // 000000003B10: 7F100280
	v_mov_b32_e32 v137, 0                                      // 000000003B14: 7F120280
	v_mov_b32_e32 v138, 0                                      // 000000003B18: 7F140280
	v_mov_b32_e32 v139, 0                                      // 000000003B1C: 7F160280
	v_mov_b32_e32 v140, 0                                      // 000000003B20: 7F180280
	v_mov_b32_e32 v141, 0                                      // 000000003B24: 7F1A0280
	v_mov_b32_e32 v142, 0                                      // 000000003B28: 7F1C0280
	v_mov_b32_e32 v143, 0                                      // 000000003B2C: 7F1E0280
	v_mov_b32_e32 v144, 0                                      // 000000003B30: 7F200280
	v_mov_b32_e32 v145, 0                                      // 000000003B34: 7F220280
	v_mov_b32_e32 v146, 0                                      // 000000003B38: 7F240280
	v_mov_b32_e32 v147, 0                                      // 000000003B3C: 7F260280
	v_mov_b32_e32 v148, 0                                      // 000000003B40: 7F280280
	v_mov_b32_e32 v149, 0                                      // 000000003B44: 7F2A0280
	v_mov_b32_e32 v150, 0                                      // 000000003B48: 7F2C0280
	v_mov_b32_e32 v151, 0                                      // 000000003B4C: 7F2E0280
	v_mov_b32_e32 v152, 0                                      // 000000003B50: 7F300280
	v_mov_b32_e32 v153, 0                                      // 000000003B54: 7F320280
	v_mov_b32_e32 v154, 0                                      // 000000003B58: 7F340280
	v_mov_b32_e32 v155, 0                                      // 000000003B5C: 7F360280
	v_mov_b32_e32 v156, 0                                      // 000000003B60: 7F380280
	v_mov_b32_e32 v157, 0                                      // 000000003B64: 7F3A0280
	v_mov_b32_e32 v158, 0                                      // 000000003B68: 7F3C0280
	v_mov_b32_e32 v159, 0                                      // 000000003B6C: 7F3E0280
	s_cmp_le_u32 s7, 0                                         // 000000003B70: BF0B8007
	s_cbranch_scc1 label_0E06                                  // 000000003B74: BF850BE8
	v_lshrrev_b32_e32 v16, 5, v0                               // 000000003B78: 20200085
	v_mul_i32_i24_e32 v17, 4, v16                              // 000000003B7C: 0C222084
	v_and_b32_e32 v16, 31, v0                                  // 000000003B80: 2620009F
	v_mul_i32_i24_e32 v12, 0x44, v16                           // 000000003B84: 0C1820FF 00000044
	v_add_u32_e32 v12, v12, v17                                // 000000003B8C: 6818230C
	v_lshlrev_b32_e32 v12, 2, v12                              // 000000003B90: 24181882
	v_lshrrev_b32_e32 v16, 5, v0                               // 000000003B94: 20200085
	v_mul_i32_i24_e32 v17, 0x80, v16                           // 000000003B98: 0C2220FF 00000080
	v_and_b32_e32 v16, 30, v0                                  // 000000003BA0: 2620009E
	v_add_u32_e32 v13, v17, v16                                // 000000003BA4: 681A2111
	v_and_b32_e32 v16, 1, v0                                   // 000000003BA8: 26200081
	v_mul_i32_i24_e32 v16, 0x410, v16                          // 000000003BAC: 0C2020FF 00000410
	v_add_u32_e32 v13, v16, v13                                // 000000003BB4: 681A1B10
	v_lshlrev_b32_e32 v13, 2, v13                              // 000000003BB8: 241A1A82
	v_lshlrev_b32_e32 v14, 1, v0                               // 000000003BBC: 241C0081
	s_mul_i32 s40, s5, 0x80                                    // 000000003BC0: 9228FF05 00000080
	v_add_u32_e32 v14, s40, v14                                // 000000003BC8: 681C1C28
	v_lshlrev_b32_e32 v14, 2, v14                              // 000000003BCC: 241C1C82
	v_lshlrev_b32_e32 v4, 2, v0                                // 000000003BD0: 24080082
	s_mul_i32 s40, s5, s61                                     // 000000003BD4: 92283D05
	v_add_u32_e32 v4, s40, v4                                  // 000000003BD8: 68080828
	s_mul_i32 s41, 8, s61                                      // 000000003BDC: 92293D88
	v_add_u32_e32 v5, s41, v4                                  // 000000003BE0: 680A0829
	v_add_u32_e32 v6, s41, v5                                  // 000000003BE4: 680C0A29
	v_add_u32_e32 v7, s41, v6                                  // 000000003BE8: 680E0C29
	s_mul_i32 s40, s5, 0x110                                   // 000000003BEC: 9228FF05 00000110
	s_add_u32 s68, 0, s40                                      // 000000003BF4: 80442880
	s_add_u32 s69, 0x2200, s68                                 // 000000003BF8: 804544FF 00002200
	v_lshlrev_b32_e32 v8, 2, v0                                // 000000003C00: 24100082
	s_mul_i32 s40, s5, s80                                     // 000000003C04: 92285005
	s_mul_i32 s40, s40, 4                                      // 000000003C08: 92288428
	v_add_u32_e32 v8, s40, v8                                  // 000000003C0C: 68101028
	v_add_u32_e32 v9, s80, v8                                  // 000000003C10: 68121050
	v_add_u32_e32 v10, s80, v9                                 // 000000003C14: 68141250
	v_add_u32_e32 v11, s80, v10                                // 000000003C18: 68161450
	s_waitcnt vmcnt(0) expcnt(0) lgkmcnt(0)                    // 000000003C1C: BF8C0000
	s_barrier                                                  // 000000003C20: BF8A0000
	s_cmp_lt_i32 s5, 4                                         // 000000003C24: BF048405
	s_cbranch_scc1 label_025B                                  // 000000003C28: BF850010
	ds_read_b128 v[160:163], v2 offset:17408                   // 000000003C2C: D9FE4400 A0000002
	ds_read_b128 v[164:167], v2 offset:17440                   // 000000003C34: D9FE4420 A4000002
	ds_read_b128 v[168:171], v2 offset:17472                   // 000000003C3C: D9FE4440 A8000002
	ds_read_b128 v[172:175], v2 offset:17504                   // 000000003C44: D9FE4460 AC000002
	ds_read_b128 v[176:179], v2 offset:17536                   // 000000003C4C: D9FE4480 B0000002
	ds_read_b128 v[180:183], v2 offset:17568                   // 000000003C54: D9FE44A0 B4000002
	ds_read_b128 v[184:187], v2 offset:17600                   // 000000003C5C: D9FE44C0 B8000002
	ds_read_b128 v[188:191], v2 offset:17632                   // 000000003C64: D9FE44E0 BC000002

0000000000003c6c <label_025B>:
	s_waitcnt vmcnt(0) expcnt(0) lgkmcnt(0)                    // 000000003C6C: BF8C0000
	s_barrier                                                  // 000000003C70: BF8A0000
	s_mov_b32 m0, s68                                          // 000000003C74: BEFC0044
	buffer_load_dword v4, s[12:15], s60 offen lds              // 000000003C78: E0511000 3C030004
	s_add_u32 m0, 0x880, m0                                    // 000000003C80: 807C7CFF 00000880
	buffer_load_dword v5, s[12:15], s60 offen lds              // 000000003C88: E0511000 3C030005
	s_add_u32 m0, 0x880, m0                                    // 000000003C90: 807C7CFF 00000880
	buffer_load_dword v6, s[12:15], s60 offen lds              // 000000003C98: E0511000 3C030006
	s_add_u32 m0, 0x880, m0                                    // 000000003CA0: 807C7CFF 00000880
	buffer_load_dword v7, s[12:15], s60 offen lds              // 000000003CA8: E0511000 3C030007
	s_add_u32 m0, 0x880, m0                                    // 000000003CB0: 807C7CFF 00000880
	s_add_i32 s60, s43, s60                                    // 000000003CB8: 813C3C2B
	s_waitcnt vmcnt(0)                                         // 000000003CBC: BF8C0F70
	s_barrier                                                  // 000000003CC0: BF8A0000
	ds_read_b128 v[192:195], v12                               // 000000003CC4: D9FE0000 C000000C
	ds_read_b128 v[196:199], v12 offset:32                     // 000000003CCC: D9FE0020 C400000C
	ds_read_b128 v[200:203], v12 offset:64                     // 000000003CD4: D9FE0040 C800000C
	ds_read_b128 v[204:207], v12 offset:96                     // 000000003CDC: D9FE0060 CC00000C
	ds_read_b128 v[208:211], v12 offset:128                    // 000000003CE4: D9FE0080 D000000C
	ds_read_b128 v[212:215], v12 offset:160                    // 000000003CEC: D9FE00A0 D400000C
	ds_read_b128 v[216:219], v12 offset:192                    // 000000003CF4: D9FE00C0 D800000C
	ds_read_b128 v[220:223], v12 offset:224                    // 000000003CFC: D9FE00E0 DC00000C
	s_waitcnt lgkmcnt(0)                                       // 000000003D04: BF8CC07F
	s_barrier                                                  // 000000003D08: BF8A0000
	s_mov_b32 m0, s69                                          // 000000003D0C: BEFC0045
	v_mfma_f32_32x32x8_bf16 v[64:79], v[192:193], v[160:161], 0// 000000003D10: D3E00040 020341C0
	buffer_load_dword v4, s[12:15], s60 offen lds              // 000000003D18: E0511000 3C030004
	s_add_u32 m0, 0x880, m0                                    // 000000003D20: 807C7CFF 00000880
	v_mfma_f32_32x32x8_bf16 v[64:79], v[194:195], v[162:163], v[64:79]// 000000003D28: D3E00040 050345C2
	v_mfma_f32_32x32x8_bf16 v[64:79], v[196:197], v[164:165], v[64:79]// 000000003D30: D3E00040 050349C4
	buffer_load_dword v5, s[12:15], s60 offen lds              // 000000003D38: E0511000 3C030005
	s_add_u32 m0, 0x880, m0                                    // 000000003D40: 807C7CFF 00000880
	v_mfma_f32_32x32x8_bf16 v[64:79], v[198:199], v[166:167], v[64:79]// 000000003D48: D3E00040 05034DC6
	v_mfma_f32_32x32x8_bf16 v[64:79], v[200:201], v[168:169], v[64:79]// 000000003D50: D3E00040 050351C8
	buffer_load_dword v6, s[12:15], s60 offen lds              // 000000003D58: E0511000 3C030006
	s_add_u32 m0, 0x880, m0                                    // 000000003D60: 807C7CFF 00000880
	v_mfma_f32_32x32x8_bf16 v[64:79], v[202:203], v[170:171], v[64:79]// 000000003D68: D3E00040 050355CA
	v_mfma_f32_32x32x8_bf16 v[64:79], v[204:205], v[172:173], v[64:79]// 000000003D70: D3E00040 050359CC
	buffer_load_dword v7, s[12:15], s60 offen lds              // 000000003D78: E0511000 3C030007
	s_add_u32 m0, 0x880, m0                                    // 000000003D80: 807C7CFF 00000880
	v_mfma_f32_32x32x8_bf16 v[64:79], v[206:207], v[174:175], v[64:79]// 000000003D88: D3E00040 05035DCE
	v_mfma_f32_32x32x8_bf16 v[64:79], v[208:209], v[176:177], v[64:79]// 000000003D90: D3E00040 050361D0
	buffer_load_dword v224, v8, s[16:19], s35 offen            // 000000003D98: E0501000 2304E008
	v_mfma_f32_32x32x8_bf16 v[64:79], v[210:211], v[178:179], v[64:79]// 000000003DA0: D3E00040 050365D2
	v_mfma_f32_32x32x8_bf16 v[64:79], v[212:213], v[180:181], v[64:79]// 000000003DA8: D3E00040 050369D4
	buffer_load_dword v225, v9, s[16:19], s35 offen            // 000000003DB0: E0501000 2304E109
	v_mfma_f32_32x32x8_bf16 v[64:79], v[214:215], v[182:183], v[64:79]// 000000003DB8: D3E00040 05036DD6
	v_mfma_f32_32x32x8_bf16 v[64:79], v[216:217], v[184:185], v[64:79]// 000000003DC0: D3E00040 050371D8
	buffer_load_dword v226, v10, s[16:19], s35 offen           // 000000003DC8: E0501000 2304E20A
	v_mfma_f32_32x32x8_bf16 v[64:79], v[218:219], v[186:187], v[64:79]// 000000003DD0: D3E00040 050375DA
	v_mfma_f32_32x32x8_bf16 v[64:79], v[220:221], v[188:189], v[64:79]// 000000003DD8: D3E00040 050379DC
	buffer_load_dword v227, v11, s[16:19], s35 offen           // 000000003DE0: E0501000 2304E30B
	v_mfma_f32_32x32x8_bf16 v[64:79], v[222:223], v[190:191], v[64:79]// 000000003DE8: D3E00040 05037DDE
	s_add_i32 s60, s43, s60                                    // 000000003DF0: 813C3C2B
	s_add_i32 s35, s44, s35                                    // 000000003DF4: 8123232C
	s_cmp_lt_i32 s52, s54                                      // 000000003DF8: BF043634
	s_cbranch_scc1 label_0303                                  // 000000003DFC: BF850043
	s_sub_i32 s40, s7, s52                                     // 000000003E00: 81A83407
	v_sub_i32 v16, s40, v30                                    // 000000003E04: D29D0010 00023C28
	v_cmp_lt_i32_e64 s[72:73], 0, v16                          // 000000003E0C: D0C10048 00022080
	v_cmp_lt_i32_e64 s[74:75], 1, v16                          // 000000003E14: D0C1004A 00022081
	v_cndmask_b32_e64 v64, v31, v64, s[72:73]                  // 000000003E1C: D1000040 0122811F
	v_cndmask_b32_e64 v65, v31, v65, s[74:75]                  // 000000003E24: D1000041 012A831F
	v_cmp_lt_i32_e64 s[72:73], 2, v16                          // 000000003E2C: D0C10048 00022082
	v_cmp_lt_i32_e64 s[74:75], 3, v16                          // 000000003E34: D0C1004A 00022083
	v_cndmask_b32_e64 v66, v31, v66, s[72:73]                  // 000000003E3C: D1000042 0122851F
	v_cndmask_b32_e64 v67, v31, v67, s[74:75]                  // 000000003E44: D1000043 012A871F
	v_cmp_lt_i32_e64 s[72:73], 8, v16                          // 000000003E4C: D0C10048 00022088
	v_cmp_lt_i32_e64 s[74:75], 9, v16                          // 000000003E54: D0C1004A 00022089
	v_cndmask_b32_e64 v68, v31, v68, s[72:73]                  // 000000003E5C: D1000044 0122891F
	v_cndmask_b32_e64 v69, v31, v69, s[74:75]                  // 000000003E64: D1000045 012A8B1F
	v_cmp_lt_i32_e64 s[72:73], 10, v16                         // 000000003E6C: D0C10048 0002208A
	v_cmp_lt_i32_e64 s[74:75], 11, v16                         // 000000003E74: D0C1004A 0002208B
	v_cndmask_b32_e64 v70, v31, v70, s[72:73]                  // 000000003E7C: D1000046 01228D1F
	v_cndmask_b32_e64 v71, v31, v71, s[74:75]                  // 000000003E84: D1000047 012A8F1F
	v_cmp_lt_i32_e64 s[72:73], 16, v16                         // 000000003E8C: D0C10048 00022090
	v_cmp_lt_i32_e64 s[74:75], 17, v16                         // 000000003E94: D0C1004A 00022091
	v_cndmask_b32_e64 v72, v31, v72, s[72:73]                  // 000000003E9C: D1000048 0122911F
	v_cndmask_b32_e64 v73, v31, v73, s[74:75]                  // 000000003EA4: D1000049 012A931F
	v_cmp_lt_i32_e64 s[72:73], 18, v16                         // 000000003EAC: D0C10048 00022092
	v_cmp_lt_i32_e64 s[74:75], 19, v16                         // 000000003EB4: D0C1004A 00022093
	v_cndmask_b32_e64 v74, v31, v74, s[72:73]                  // 000000003EBC: D100004A 0122951F
	v_cndmask_b32_e64 v75, v31, v75, s[74:75]                  // 000000003EC4: D100004B 012A971F
	v_cmp_lt_i32_e64 s[72:73], 24, v16                         // 000000003ECC: D0C10048 00022098
	v_cmp_lt_i32_e64 s[74:75], 25, v16                         // 000000003ED4: D0C1004A 00022099
	v_cndmask_b32_e64 v76, v31, v76, s[72:73]                  // 000000003EDC: D100004C 0122991F
	v_cndmask_b32_e64 v77, v31, v77, s[74:75]                  // 000000003EE4: D100004D 012A9B1F
	v_cmp_lt_i32_e64 s[72:73], 26, v16                         // 000000003EEC: D0C10048 0002209A
	v_cmp_lt_i32_e64 s[74:75], 27, v16                         // 000000003EF4: D0C1004A 0002209B
	v_cndmask_b32_e64 v78, v31, v78, s[72:73]                  // 000000003EFC: D100004E 01229D1F
	v_cndmask_b32_e64 v79, v31, v79, s[74:75]                  // 000000003F04: D100004F 012A9F1F

0000000000003f0c <label_0303>:
	v_max3_f32 v25, v64, v65, v28                              // 000000003F0C: D1D30019 04728340
	v_max3_f32 v25, v66, v67, v25                              // 000000003F14: D1D30019 04668742
	v_max3_f32 v25, v68, v69, v25                              // 000000003F1C: D1D30019 04668B44
	v_max3_f32 v25, v70, v71, v25                              // 000000003F24: D1D30019 04668F46
	v_max3_f32 v25, v72, v73, v25                              // 000000003F2C: D1D30019 04669348
	v_max3_f32 v25, v74, v75, v25                              // 000000003F34: D1D30019 0466974A
	v_max3_f32 v25, v76, v77, v25                              // 000000003F3C: D1D30019 04669B4C
	v_max3_f32 v25, v78, v79, v25                              // 000000003F44: D1D30019 04669F4E
	ds_permute_b32 v24, v32, v25                               // 000000003F4C: D87C0000 18001920
	s_waitcnt lgkmcnt(0)                                       // 000000003F54: BF8CC07F
	v_max_f32_e32 v25, v24, v25                                // 000000003F58: 16323318
	v_mov_b32_e32 v20, 0                                       // 000000003F5C: 7E280280
	v_mov_b32_e32 v28, v25                                     // 000000003F60: 7E380319
	v_mul_f32_e32 v27, s56, v25                                // 000000003F64: 0A363238
	v_mul_f32_e32 v20, s56, v20                                // 000000003F68: 0A282838
	v_exp_f32_e32 v20, v20                                     // 000000003F6C: 7E284114
	v_add_f32_e64 v36, 0, -v27                                 // 000000003F70: D1010024 40023680
	v_mov_b32_e32 v37, v36                                     // 000000003F78: 7E4A0324
	v_pk_fma_f32 v[64:65], v[64:65], s[56:57], v[36:37]        // 000000003F7C: D3B04040 1C907140
	v_pk_fma_f32 v[66:67], v[66:67], s[56:57], v[36:37]        // 000000003F84: D3B04042 1C907142
	v_pk_fma_f32 v[68:69], v[68:69], s[56:57], v[36:37]        // 000000003F8C: D3B04044 1C907144
	v_pk_fma_f32 v[70:71], v[70:71], s[56:57], v[36:37]        // 000000003F94: D3B04046 1C907146
	v_pk_fma_f32 v[72:73], v[72:73], s[56:57], v[36:37]        // 000000003F9C: D3B04048 1C907148
	v_pk_fma_f32 v[74:75], v[74:75], s[56:57], v[36:37]        // 000000003FA4: D3B0404A 1C90714A
	v_pk_fma_f32 v[76:77], v[76:77], s[56:57], v[36:37]        // 000000003FAC: D3B0404C 1C90714C
	v_pk_fma_f32 v[78:79], v[78:79], s[56:57], v[36:37]        // 000000003FB4: D3B0404E 1C90714E
	s_addk_i32 s39, 0x20                                       // 000000003FBC: B7270020
	s_add_i32 s52, s52, s53                                    // 000000003FC0: 81343534
	s_mov_b32 m0, s68                                          // 000000003FC4: BEFC0044
	buffer_load_dword v4, s[12:15], s60 offen lds              // 000000003FC8: E0511000 3C030004
	s_add_u32 m0, 0x880, m0                                    // 000000003FD0: 807C7CFF 00000880
	buffer_load_dword v5, s[12:15], s60 offen lds              // 000000003FD8: E0511000 3C030005
	s_add_u32 m0, 0x880, m0                                    // 000000003FE0: 807C7CFF 00000880
	buffer_load_dword v6, s[12:15], s60 offen lds              // 000000003FE8: E0511000 3C030006
	s_add_u32 m0, 0x880, m0                                    // 000000003FF0: 807C7CFF 00000880
	buffer_load_dword v7, s[12:15], s60 offen lds              // 000000003FF8: E0511000 3C030007
	s_add_u32 m0, 0x880, m0                                    // 000000004000: 807C7CFF 00000880
	s_add_i32 s60, s43, s60                                    // 000000004008: 813C3C2B
	s_waitcnt vmcnt(8)                                         // 00000000400C: BF8C0F78
	s_barrier                                                  // 000000004010: BF8A0000
	s_cmp_lt_i32 s39, s38                                      // 000000004014: BF042627
	s_cbranch_scc0 label_0BEC                                  // 000000004018: BF8408A5
	s_cmp_lt_i32 s5, 4                                         // 00000000401C: BF048405
	s_cbranch_scc0 label_07AE                                  // 000000004020: BF840465
	buffer_load_dword v228, v8, s[16:19], s35 offen            // 000000004024: E0501000 2304E408
	buffer_load_dword v229, v9, s[16:19], s35 offen            // 00000000402C: E0501000 2304E509
	buffer_load_dword v230, v10, s[16:19], s35 offen           // 000000004034: E0501000 2304E60A
	buffer_load_dword v231, v11, s[16:19], s35 offen           // 00000000403C: E0501000 2304E70B
	s_add_i32 s35, s44, s35                                    // 000000004044: 8123232C
	ds_read_b128 v[192:195], v12 offset:8704                   // 000000004048: D9FE2200 C000000C
	ds_read_b128 v[196:199], v12 offset:8736                   // 000000004050: D9FE2220 C400000C
	ds_read_b128 v[200:203], v12 offset:8768                   // 000000004058: D9FE2240 C800000C
	ds_read_b128 v[204:207], v12 offset:8800                   // 000000004060: D9FE2260 CC00000C
	ds_read_b128 v[208:211], v12 offset:8832                   // 000000004068: D9FE2280 D000000C
	ds_read_b128 v[212:215], v12 offset:8864                   // 000000004070: D9FE22A0 D400000C
	ds_read_b128 v[216:219], v12 offset:8896                   // 000000004078: D9FE22C0 D800000C
	ds_read_b128 v[220:223], v12 offset:8928                   // 000000004080: D9FE22E0 DC00000C
	s_setprio 0                                                // 000000004088: BF8F0000
	s_barrier                                                  // 00000000408C: BF8A0000

0000000000004090 <label_0364>:
	s_waitcnt lgkmcnt(0)                                       // 000000004090: BF8CC07F
	v_pk_add_f32 v[16:17], v[96:97], v[96:97]                  // 000000004094: D3B24010 1802C160
	v_mfma_f32_32x32x8_bf16 v[80:95], v[192:193], v[160:161], 0// 00000000409C: D3E00050 020341C0
	v_mfma_f32_32x32x8_bf16 v[80:95], v[194:195], v[162:163], v[80:95]// 0000000040A4: D3E00050 054345C2
	v_mfma_f32_32x32x8_bf16 v[80:95], v[196:197], v[164:165], v[80:95]// 0000000040AC: D3E00050 054349C4
	v_mfma_f32_32x32x8_bf16 v[80:95], v[198:199], v[166:167], v[80:95]// 0000000040B4: D3E00050 05434DC6
	v_mfma_f32_32x32x8_bf16 v[80:95], v[200:201], v[168:169], v[80:95]// 0000000040BC: D3E00050 054351C8
	v_mfma_f32_32x32x8_bf16 v[80:95], v[202:203], v[170:171], v[80:95]// 0000000040C4: D3E00050 054355CA
	v_mfma_f32_32x32x8_bf16 v[80:95], v[204:205], v[172:173], v[80:95]// 0000000040CC: D3E00050 054359CC
	v_mfma_f32_32x32x8_bf16 v[80:95], v[206:207], v[174:175], v[80:95]// 0000000040D4: D3E00050 05435DCE
	v_mfma_f32_32x32x8_bf16 v[80:95], v[208:209], v[176:177], v[80:95]// 0000000040DC: D3E00050 054361D0
	v_mfma_f32_32x32x8_bf16 v[80:95], v[210:211], v[178:179], v[80:95]// 0000000040E4: D3E00050 054365D2
	v_mfma_f32_32x32x8_bf16 v[80:95], v[212:213], v[180:181], v[80:95]// 0000000040EC: D3E00050 054369D4
	v_mfma_f32_32x32x8_bf16 v[80:95], v[214:215], v[182:183], v[80:95]// 0000000040F4: D3E00050 05436DD6
	v_mfma_f32_32x32x8_bf16 v[80:95], v[216:217], v[184:185], v[80:95]// 0000000040FC: D3E00050 054371D8
	v_mfma_f32_32x32x8_bf16 v[80:95], v[218:219], v[186:187], v[80:95]// 000000004104: D3E00050 054375DA
	v_mfma_f32_32x32x8_bf16 v[80:95], v[220:221], v[188:189], v[80:95]// 00000000410C: D3E00050 054379DC
	v_exp_f32_e32 v64, v64                                     // 000000004114: 7E804140
	v_exp_f32_e32 v65, v65                                     // 000000004118: 7E824141
	v_exp_f32_e32 v66, v66                                     // 00000000411C: 7E844142
	v_exp_f32_e32 v67, v67                                     // 000000004120: 7E864143
	v_exp_f32_e32 v68, v68                                     // 000000004124: 7E884144
	v_exp_f32_e32 v69, v69                                     // 000000004128: 7E8A4145
	v_exp_f32_e32 v70, v70                                     // 00000000412C: 7E8C4146
	v_exp_f32_e32 v71, v71                                     // 000000004130: 7E8E4147
	v_exp_f32_e32 v72, v72                                     // 000000004134: 7E904148
	v_exp_f32_e32 v73, v73                                     // 000000004138: 7E924149
	v_exp_f32_e32 v74, v74                                     // 00000000413C: 7E94414A
	v_exp_f32_e32 v75, v75                                     // 000000004140: 7E96414B
	v_exp_f32_e32 v76, v76                                     // 000000004144: 7E98414C
	v_exp_f32_e32 v77, v77                                     // 000000004148: 7E9A414D
	v_exp_f32_e32 v78, v78                                     // 00000000414C: 7E9C414E
	v_exp_f32_e32 v79, v79                                     // 000000004150: 7E9E414F
	v_mul_f32_e32 v22, v20, v22                                // 000000004154: 0A2C2D14
	v_pk_add_f32 v[38:39], v[64:65], v[66:67]                  // 000000004158: D3B24026 18028540
	v_pk_add_f32 v[38:39], v[68:69], v[38:39]                  // 000000004160: D3B24026 18024D44
	v_pk_add_f32 v[38:39], v[70:71], v[38:39]                  // 000000004168: D3B24026 18024D46
	v_pk_add_f32 v[38:39], v[72:73], v[38:39]                  // 000000004170: D3B24026 18024D48
	v_pk_add_f32 v[38:39], v[74:75], v[38:39]                  // 000000004178: D3B24026 18024D4A
	v_pk_add_f32 v[38:39], v[76:77], v[38:39]                  // 000000004180: D3B24026 18024D4C
	v_pk_add_f32 v[38:39], v[78:79], v[38:39]                  // 000000004188: D3B24026 18024D4E
	v_add_f32_e32 v38, v38, v39                                // 000000004190: 024C4F26
	v_add_f32_e32 v22, v38, v22                                // 000000004194: 022C2D26
	v_cmp_u_f32_e64 s[70:71], v64, v64                         // 000000004198: D0480046 00028140
	v_bfe_u32 v40, v64, 16, 1                                  // 0000000041A0: D1C80028 02052140
	v_add3_u32 v40, v64, v40, v43                              // 0000000041A8: D1FF0028 04AE5140
	v_cndmask_b32_e64 v16, v40, v42, s[70:71]                  // 0000000041B0: D1000010 011A5528
	v_lshrrev_b32_e32 v16, 16, v16                             // 0000000041B8: 20202090
	v_cmp_u_f32_e64 s[70:71], v65, v65                         // 0000000041BC: D0480046 00028341
	v_bfe_u32 v40, v65, 16, 1                                  // 0000000041C4: D1C80028 02052141
	v_add3_u32 v40, v65, v40, v43                              // 0000000041CC: D1FF0028 04AE5141
	v_cndmask_b32_e64 v17, v40, v42, s[70:71]                  // 0000000041D4: D1000011 011A5528
	v_and_or_b32 v64, v17, v41, v16                            // 0000000041DC: D2010040 04425311
	v_cmp_u_f32_e64 s[70:71], v66, v66                         // 0000000041E4: D0480046 00028542
	v_bfe_u32 v40, v66, 16, 1                                  // 0000000041EC: D1C80028 02052142
	v_add3_u32 v40, v66, v40, v43                              // 0000000041F4: D1FF0028 04AE5142
	v_cndmask_b32_e64 v16, v40, v42, s[70:71]                  // 0000000041FC: D1000010 011A5528
	v_lshrrev_b32_e32 v16, 16, v16                             // 000000004204: 20202090
	v_cmp_u_f32_e64 s[70:71], v67, v67                         // 000000004208: D0480046 00028743
	v_bfe_u32 v40, v67, 16, 1                                  // 000000004210: D1C80028 02052143
	v_add3_u32 v40, v67, v40, v43                              // 000000004218: D1FF0028 04AE5143
	v_cndmask_b32_e64 v17, v40, v42, s[70:71]                  // 000000004220: D1000011 011A5528
	v_and_or_b32 v65, v17, v41, v16                            // 000000004228: D2010041 04425311
	v_cmp_u_f32_e64 s[70:71], v68, v68                         // 000000004230: D0480046 00028944
	v_bfe_u32 v40, v68, 16, 1                                  // 000000004238: D1C80028 02052144
	v_add3_u32 v40, v68, v40, v43                              // 000000004240: D1FF0028 04AE5144
	v_cndmask_b32_e64 v16, v40, v42, s[70:71]                  // 000000004248: D1000010 011A5528
	v_lshrrev_b32_e32 v16, 16, v16                             // 000000004250: 20202090
	v_cmp_u_f32_e64 s[70:71], v69, v69                         // 000000004254: D0480046 00028B45
	v_bfe_u32 v40, v69, 16, 1                                  // 00000000425C: D1C80028 02052145
	v_add3_u32 v40, v69, v40, v43                              // 000000004264: D1FF0028 04AE5145
	v_cndmask_b32_e64 v17, v40, v42, s[70:71]                  // 00000000426C: D1000011 011A5528
	v_and_or_b32 v66, v17, v41, v16                            // 000000004274: D2010042 04425311
	v_cmp_u_f32_e64 s[70:71], v70, v70                         // 00000000427C: D0480046 00028D46
	v_bfe_u32 v40, v70, 16, 1                                  // 000000004284: D1C80028 02052146
	v_add3_u32 v40, v70, v40, v43                              // 00000000428C: D1FF0028 04AE5146
	v_cndmask_b32_e64 v16, v40, v42, s[70:71]                  // 000000004294: D1000010 011A5528
	v_lshrrev_b32_e32 v16, 16, v16                             // 00000000429C: 20202090
	v_cmp_u_f32_e64 s[70:71], v71, v71                         // 0000000042A0: D0480046 00028F47
	v_bfe_u32 v40, v71, 16, 1                                  // 0000000042A8: D1C80028 02052147
	v_add3_u32 v40, v71, v40, v43                              // 0000000042B0: D1FF0028 04AE5147
	v_cndmask_b32_e64 v17, v40, v42, s[70:71]                  // 0000000042B8: D1000011 011A5528
	v_and_or_b32 v67, v17, v41, v16                            // 0000000042C0: D2010043 04425311
	v_cmp_u_f32_e64 s[70:71], v72, v72                         // 0000000042C8: D0480046 00029148
	v_bfe_u32 v40, v72, 16, 1                                  // 0000000042D0: D1C80028 02052148
	v_add3_u32 v40, v72, v40, v43                              // 0000000042D8: D1FF0028 04AE5148
	v_cndmask_b32_e64 v16, v40, v42, s[70:71]                  // 0000000042E0: D1000010 011A5528
	v_lshrrev_b32_e32 v16, 16, v16                             // 0000000042E8: 20202090
	v_cmp_u_f32_e64 s[70:71], v73, v73                         // 0000000042EC: D0480046 00029349
	v_bfe_u32 v40, v73, 16, 1                                  // 0000000042F4: D1C80028 02052149
	v_add3_u32 v40, v73, v40, v43                              // 0000000042FC: D1FF0028 04AE5149
	v_cndmask_b32_e64 v17, v40, v42, s[70:71]                  // 000000004304: D1000011 011A5528
	v_and_or_b32 v68, v17, v41, v16                            // 00000000430C: D2010044 04425311
	v_cmp_u_f32_e64 s[70:71], v74, v74                         // 000000004314: D0480046 0002954A
	v_bfe_u32 v40, v74, 16, 1                                  // 00000000431C: D1C80028 0205214A
	v_add3_u32 v40, v74, v40, v43                              // 000000004324: D1FF0028 04AE514A
	v_cndmask_b32_e64 v16, v40, v42, s[70:71]                  // 00000000432C: D1000010 011A5528
	v_lshrrev_b32_e32 v16, 16, v16                             // 000000004334: 20202090
	v_cmp_u_f32_e64 s[70:71], v75, v75                         // 000000004338: D0480046 0002974B
	v_bfe_u32 v40, v75, 16, 1                                  // 000000004340: D1C80028 0205214B
	v_add3_u32 v40, v75, v40, v43                              // 000000004348: D1FF0028 04AE514B
	v_cndmask_b32_e64 v17, v40, v42, s[70:71]                  // 000000004350: D1000011 011A5528
	v_and_or_b32 v69, v17, v41, v16                            // 000000004358: D2010045 04425311
	v_cmp_u_f32_e64 s[70:71], v76, v76                         // 000000004360: D0480046 0002994C
	v_bfe_u32 v40, v76, 16, 1                                  // 000000004368: D1C80028 0205214C
	v_add3_u32 v40, v76, v40, v43                              // 000000004370: D1FF0028 04AE514C
	v_cndmask_b32_e64 v16, v40, v42, s[70:71]                  // 000000004378: D1000010 011A5528
	v_lshrrev_b32_e32 v16, 16, v16                             // 000000004380: 20202090
	v_cmp_u_f32_e64 s[70:71], v77, v77                         // 000000004384: D0480046 00029B4D
	v_bfe_u32 v40, v77, 16, 1                                  // 00000000438C: D1C80028 0205214D
	v_add3_u32 v40, v77, v40, v43                              // 000000004394: D1FF0028 04AE514D
	v_cndmask_b32_e64 v17, v40, v42, s[70:71]                  // 00000000439C: D1000011 011A5528
	v_and_or_b32 v70, v17, v41, v16                            // 0000000043A4: D2010046 04425311
	v_cmp_u_f32_e64 s[70:71], v78, v78                         // 0000000043AC: D0480046 00029D4E
	v_bfe_u32 v40, v78, 16, 1                                  // 0000000043B4: D1C80028 0205214E
	v_add3_u32 v40, v78, v40, v43                              // 0000000043BC: D1FF0028 04AE514E
	v_cndmask_b32_e64 v16, v40, v42, s[70:71]                  // 0000000043C4: D1000010 011A5528
	v_lshrrev_b32_e32 v16, 16, v16                             // 0000000043CC: 20202090
	v_cmp_u_f32_e64 s[70:71], v79, v79                         // 0000000043D0: D0480046 00029F4F
	v_bfe_u32 v40, v79, 16, 1                                  // 0000000043D8: D1C80028 0205214F
	v_add3_u32 v40, v79, v40, v43                              // 0000000043E0: D1FF0028 04AE514F
	v_cndmask_b32_e64 v17, v40, v42, s[70:71]                  // 0000000043E8: D1000011 011A5528
	v_and_or_b32 v71, v17, v41, v16                            // 0000000043F0: D2010047 04425311
	v_mfma_f32_32x32x8_bf16 v[80:95], v[222:223], v[190:191], v[80:95]// 0000000043F8: D3E00050 05437DDE
	s_waitcnt vmcnt(8)                                         // 000000004400: BF8C0F78
	s_barrier                                                  // 000000004404: BF8A0000
	v_perm_b32 v232, v225, v224, s50                           // 000000004408: D1ED00E8 00CBC1E1
	v_perm_b32 v234, v225, v224, s49                           // 000000004410: D1ED00EA 00C7C1E1
	v_perm_b32 v233, v227, v226, s50                           // 000000004418: D1ED00E9 00CBC5E3
	v_perm_b32 v235, v227, v226, s49                           // 000000004420: D1ED00EB 00C7C5E3
	ds_write_b64 v14, v[232:233] offset:17408                  // 000000004428: D89A4400 0000E80E
	ds_write_b64 v14, v[234:235] offset:21568                  // 000000004430: D89A5440 0000EA0E
	s_waitcnt lgkmcnt(0)                                       // 000000004438: BF8CC07F
	s_barrier                                                  // 00000000443C: BF8A0000
	s_mov_b32 m0, s69                                          // 000000004440: BEFC0045
	buffer_load_dword v4, s[12:15], s60 offen lds              // 000000004444: E0511000 3C030004
	s_add_u32 m0, 0x880, m0                                    // 00000000444C: 807C7CFF 00000880
	buffer_load_dword v5, s[12:15], s60 offen lds              // 000000004454: E0511000 3C030005
	s_add_u32 m0, 0x880, m0                                    // 00000000445C: 807C7CFF 00000880
	buffer_load_dword v6, s[12:15], s60 offen lds              // 000000004464: E0511000 3C030006
	s_add_u32 m0, 0x880, m0                                    // 00000000446C: 807C7CFF 00000880
	buffer_load_dword v7, s[12:15], s60 offen lds              // 000000004474: E0511000 3C030007
	s_add_u32 m0, 0x880, m0                                    // 00000000447C: 807C7CFF 00000880
	s_add_i32 s60, s43, s60                                    // 000000004484: 813C3C2B
	s_nop 0                                                    // 000000004488: BF800000
	s_add_u32 s40, 0x80, s39                                   // 00000000448C: 802827FF 00000080
	s_nop 0                                                    // 000000004494: BF800000
	s_cmp_lt_u32 s40, s38                                      // 000000004498: BF0A2628
	s_cselect_b32 s43, s43, 0                                  // 00000000449C: 852B802B
	ds_read_b64 v[192:193], v13 offset:17408                   // 0000000044A0: D8EC4400 C000000D
	ds_read_b64 v[194:195], v13 offset:18432                   // 0000000044A8: D8EC4800 C200000D
	ds_read_b64 v[196:197], v13 offset:19456                   // 0000000044B0: D8EC4C00 C400000D
	ds_read_b64 v[198:199], v13 offset:20480                   // 0000000044B8: D8EC5000 C600000D
	ds_read_b64 v[200:201], v13 offset:17536                   // 0000000044C0: D8EC4480 C800000D
	ds_read_b64 v[202:203], v13 offset:18560                   // 0000000044C8: D8EC4880 CA00000D
	ds_read_b64 v[204:205], v13 offset:19584                   // 0000000044D0: D8EC4C80 CC00000D
	ds_read_b64 v[206:207], v13 offset:20608                   // 0000000044D8: D8EC5080 CE00000D
	ds_read_b64 v[208:209], v13 offset:17664                   // 0000000044E0: D8EC4500 D000000D
	ds_read_b64 v[210:211], v13 offset:18688                   // 0000000044E8: D8EC4900 D200000D
	ds_read_b64 v[212:213], v13 offset:19712                   // 0000000044F0: D8EC4D00 D400000D
	ds_read_b64 v[214:215], v13 offset:20736                   // 0000000044F8: D8EC5100 D600000D
	ds_read_b64 v[216:217], v13 offset:17792                   // 000000004500: D8EC4580 D800000D
	ds_read_b64 v[218:219], v13 offset:18816                   // 000000004508: D8EC4980 DA00000D
	ds_read_b64 v[220:221], v13 offset:19840                   // 000000004510: D8EC4D80 DC00000D
	ds_read_b64 v[222:223], v13 offset:20864                   // 000000004518: D8EC5180 DE00000D
	s_nop 0                                                    // 000000004520: BF800000
	s_cmp_lt_i32 s52, s54                                      // 000000004524: BF043634
	s_cbranch_scc1 label_04CE                                  // 000000004528: BF850043
	s_sub_i32 s40, s7, s52                                     // 00000000452C: 81A83407
	v_sub_i32 v16, s40, v30                                    // 000000004530: D29D0010 00023C28
	v_cmp_lt_i32_e64 s[72:73], 0, v16                          // 000000004538: D0C10048 00022080
	v_cmp_lt_i32_e64 s[74:75], 1, v16                          // 000000004540: D0C1004A 00022081
	v_cndmask_b32_e64 v80, v31, v80, s[72:73]                  // 000000004548: D1000050 0122A11F
	v_cndmask_b32_e64 v81, v31, v81, s[74:75]                  // 000000004550: D1000051 012AA31F
	v_cmp_lt_i32_e64 s[72:73], 2, v16                          // 000000004558: D0C10048 00022082
	v_cmp_lt_i32_e64 s[74:75], 3, v16                          // 000000004560: D0C1004A 00022083
	v_cndmask_b32_e64 v82, v31, v82, s[72:73]                  // 000000004568: D1000052 0122A51F
	v_cndmask_b32_e64 v83, v31, v83, s[74:75]                  // 000000004570: D1000053 012AA71F
	v_cmp_lt_i32_e64 s[72:73], 8, v16                          // 000000004578: D0C10048 00022088
	v_cmp_lt_i32_e64 s[74:75], 9, v16                          // 000000004580: D0C1004A 00022089
	v_cndmask_b32_e64 v84, v31, v84, s[72:73]                  // 000000004588: D1000054 0122A91F
	v_cndmask_b32_e64 v85, v31, v85, s[74:75]                  // 000000004590: D1000055 012AAB1F
	v_cmp_lt_i32_e64 s[72:73], 10, v16                         // 000000004598: D0C10048 0002208A
	v_cmp_lt_i32_e64 s[74:75], 11, v16                         // 0000000045A0: D0C1004A 0002208B
	v_cndmask_b32_e64 v86, v31, v86, s[72:73]                  // 0000000045A8: D1000056 0122AD1F
	v_cndmask_b32_e64 v87, v31, v87, s[74:75]                  // 0000000045B0: D1000057 012AAF1F
	v_cmp_lt_i32_e64 s[72:73], 16, v16                         // 0000000045B8: D0C10048 00022090
	v_cmp_lt_i32_e64 s[74:75], 17, v16                         // 0000000045C0: D0C1004A 00022091
	v_cndmask_b32_e64 v88, v31, v88, s[72:73]                  // 0000000045C8: D1000058 0122B11F
	v_cndmask_b32_e64 v89, v31, v89, s[74:75]                  // 0000000045D0: D1000059 012AB31F
	v_cmp_lt_i32_e64 s[72:73], 18, v16                         // 0000000045D8: D0C10048 00022092
	v_cmp_lt_i32_e64 s[74:75], 19, v16                         // 0000000045E0: D0C1004A 00022093
	v_cndmask_b32_e64 v90, v31, v90, s[72:73]                  // 0000000045E8: D100005A 0122B51F
	v_cndmask_b32_e64 v91, v31, v91, s[74:75]                  // 0000000045F0: D100005B 012AB71F
	v_cmp_lt_i32_e64 s[72:73], 24, v16                         // 0000000045F8: D0C10048 00022098
	v_cmp_lt_i32_e64 s[74:75], 25, v16                         // 000000004600: D0C1004A 00022099
	v_cndmask_b32_e64 v92, v31, v92, s[72:73]                  // 000000004608: D100005C 0122B91F
	v_cndmask_b32_e64 v93, v31, v93, s[74:75]                  // 000000004610: D100005D 012ABB1F
	v_cmp_lt_i32_e64 s[72:73], 26, v16                         // 000000004618: D0C10048 0002209A
	v_cmp_lt_i32_e64 s[74:75], 27, v16                         // 000000004620: D0C1004A 0002209B
	v_cndmask_b32_e64 v94, v31, v94, s[72:73]                  // 000000004628: D100005E 0122BD1F
	v_cndmask_b32_e64 v95, v31, v95, s[74:75]                  // 000000004630: D100005F 012ABF1F

0000000000004638 <label_04CE>:
	s_waitcnt lgkmcnt(0)                                       // 000000004638: BF8CC07F
	s_barrier                                                  // 00000000463C: BF8A0000
	v_max3_f32 v25, v80, v81, v28                              // 000000004640: D1D30019 0472A350
	v_max3_f32 v25, v82, v83, v25                              // 000000004648: D1D30019 0466A752
	v_max3_f32 v25, v84, v85, v25                              // 000000004650: D1D30019 0466AB54
	v_max3_f32 v25, v86, v87, v25                              // 000000004658: D1D30019 0466AF56
	v_max3_f32 v25, v88, v89, v25                              // 000000004660: D1D30019 0466B358
	v_max3_f32 v25, v90, v91, v25                              // 000000004668: D1D30019 0466B75A
	v_max3_f32 v25, v92, v93, v25                              // 000000004670: D1D30019 0466BB5C
	v_max3_f32 v25, v94, v95, v25                              // 000000004678: D1D30019 0466BF5E
	v_mfma_f32_32x32x8_bf16 v[96:111], v[192:193], v[64:65], v[96:111]// 000000004680: D3E00060 058281C0
	ds_permute_b32 v24, v32, v25                               // 000000004688: D87C0000 18001920
	v_mfma_f32_32x32x8_bf16 v[96:111], v[194:195], v[66:67], v[96:111]// 000000004690: D3E00060 058285C2
	v_mfma_f32_32x32x8_bf16 v[96:111], v[196:197], v[68:69], v[96:111]// 000000004698: D3E00060 058289C4
	v_mfma_f32_32x32x8_bf16 v[96:111], v[198:199], v[70:71], v[96:111]// 0000000046A0: D3E00060 05828DC6
	v_mfma_f32_32x32x8_bf16 v[112:127], v[200:201], v[64:65], v[112:127]// 0000000046A8: D3E00070 05C281C8
	v_mfma_f32_32x32x8_bf16 v[112:127], v[202:203], v[66:67], v[112:127]// 0000000046B0: D3E00070 05C285CA
	v_mfma_f32_32x32x8_bf16 v[112:127], v[204:205], v[68:69], v[112:127]// 0000000046B8: D3E00070 05C289CC
	v_mfma_f32_32x32x8_bf16 v[112:127], v[206:207], v[70:71], v[112:127]// 0000000046C0: D3E00070 05C28DCE
	v_mfma_f32_32x32x8_bf16 v[128:143], v[208:209], v[64:65], v[128:143]// 0000000046C8: D3E00080 060281D0
	s_waitcnt lgkmcnt(0)                                       // 0000000046D0: BF8CC07F
	v_mfma_f32_32x32x8_bf16 v[128:143], v[210:211], v[66:67], v[128:143]// 0000000046D4: D3E00080 060285D2
	v_mfma_f32_32x32x8_bf16 v[128:143], v[212:213], v[68:69], v[128:143]// 0000000046DC: D3E00080 060289D4
	v_mfma_f32_32x32x8_bf16 v[128:143], v[214:215], v[70:71], v[128:143]// 0000000046E4: D3E00080 06028DD6
	v_mfma_f32_32x32x8_bf16 v[144:159], v[216:217], v[64:65], v[144:159]// 0000000046EC: D3E00090 064281D8
	v_mfma_f32_32x32x8_bf16 v[144:159], v[218:219], v[66:67], v[144:159]// 0000000046F4: D3E00090 064285DA
	v_mfma_f32_32x32x8_bf16 v[144:159], v[220:221], v[68:69], v[144:159]// 0000000046FC: D3E00090 064289DC
	v_max_f32_e32 v25, v24, v25                                // 000000004704: 16323318
	v_sub_f32_e32 v20, v28, v25                                // 000000004708: 0428331C
	v_mov_b32_e32 v28, v25                                     // 00000000470C: 7E380319
	v_mul_f32_e32 v27, s56, v25                                // 000000004710: 0A363238
	v_mul_f32_e32 v20, s56, v20                                // 000000004714: 0A282838
	v_exp_f32_e32 v20, v20                                     // 000000004718: 7E284114
	v_add_f32_e64 v36, 0, -v27                                 // 00000000471C: D1010024 40023680
	v_mov_b32_e32 v37, v36                                     // 000000004724: 7E4A0324
	v_pk_fma_f32 v[80:81], v[80:81], s[56:57], v[36:37]        // 000000004728: D3B04050 1C907150
	v_pk_fma_f32 v[82:83], v[82:83], s[56:57], v[36:37]        // 000000004730: D3B04052 1C907152
	v_pk_fma_f32 v[84:85], v[84:85], s[56:57], v[36:37]        // 000000004738: D3B04054 1C907154
	v_pk_fma_f32 v[86:87], v[86:87], s[56:57], v[36:37]        // 000000004740: D3B04056 1C907156
	v_pk_fma_f32 v[88:89], v[88:89], s[56:57], v[36:37]        // 000000004748: D3B04058 1C907158
	v_pk_fma_f32 v[90:91], v[90:91], s[56:57], v[36:37]        // 000000004750: D3B0405A 1C90715A
	v_pk_fma_f32 v[92:93], v[92:93], s[56:57], v[36:37]        // 000000004758: D3B0405C 1C90715C
	v_pk_fma_f32 v[94:95], v[94:95], s[56:57], v[36:37]        // 000000004760: D3B0405E 1C90715E
	v_mfma_f32_32x32x8_bf16 v[144:159], v[222:223], v[70:71], v[144:159]// 000000004768: D3E00090 06428DDE
	s_setprio 1                                                // 000000004770: BF8F0001
	s_waitcnt vmcnt(8)                                         // 000000004774: BF8C0F78
	s_barrier                                                  // 000000004778: BF8A0000
	v_mov_b32_e32 v21, v20                                     // 00000000477C: 7E2A0314
	v_mul_f32_e32 v96, v20, v96                                // 000000004780: 0AC0C114
	v_mul_f32_e32 v97, v20, v97                                // 000000004784: 0AC2C314
	v_pk_mul_f32 v[98:99], v[20:21], v[98:99]                  // 000000004788: D3B14062 1802C514
	v_pk_mul_f32 v[100:101], v[20:21], v[100:101]              // 000000004790: D3B14064 1802C914
	v_pk_mul_f32 v[102:103], v[20:21], v[102:103]              // 000000004798: D3B14066 1802CD14
	v_pk_mul_f32 v[104:105], v[20:21], v[104:105]              // 0000000047A0: D3B14068 1802D114
	v_pk_mul_f32 v[106:107], v[20:21], v[106:107]              // 0000000047A8: D3B1406A 1802D514
	v_pk_mul_f32 v[108:109], v[20:21], v[108:109]              // 0000000047B0: D3B1406C 1802D914
	v_pk_mul_f32 v[110:111], v[20:21], v[110:111]              // 0000000047B8: D3B1406E 1802DD14
	v_pk_mul_f32 v[112:113], v[20:21], v[112:113]              // 0000000047C0: D3B14070 1802E114
	v_pk_mul_f32 v[114:115], v[20:21], v[114:115]              // 0000000047C8: D3B14072 1802E514
	v_pk_mul_f32 v[116:117], v[20:21], v[116:117]              // 0000000047D0: D3B14074 1802E914
	v_pk_mul_f32 v[118:119], v[20:21], v[118:119]              // 0000000047D8: D3B14076 1802ED14
	v_pk_mul_f32 v[120:121], v[20:21], v[120:121]              // 0000000047E0: D3B14078 1802F114
	v_pk_mul_f32 v[122:123], v[20:21], v[122:123]              // 0000000047E8: D3B1407A 1802F514
	v_pk_mul_f32 v[124:125], v[20:21], v[124:125]              // 0000000047F0: D3B1407C 1802F914
	v_pk_mul_f32 v[126:127], v[20:21], v[126:127]              // 0000000047F8: D3B1407E 1802FD14
	v_pk_mul_f32 v[128:129], v[20:21], v[128:129]              // 000000004800: D3B14080 18030114
	v_pk_mul_f32 v[130:131], v[20:21], v[130:131]              // 000000004808: D3B14082 18030514
	v_pk_mul_f32 v[132:133], v[20:21], v[132:133]              // 000000004810: D3B14084 18030914
	v_pk_mul_f32 v[134:135], v[20:21], v[134:135]              // 000000004818: D3B14086 18030D14
	v_pk_mul_f32 v[136:137], v[20:21], v[136:137]              // 000000004820: D3B14088 18031114
	v_pk_mul_f32 v[138:139], v[20:21], v[138:139]              // 000000004828: D3B1408A 18031514
	v_pk_mul_f32 v[140:141], v[20:21], v[140:141]              // 000000004830: D3B1408C 18031914
	v_pk_mul_f32 v[142:143], v[20:21], v[142:143]              // 000000004838: D3B1408E 18031D14
	v_pk_mul_f32 v[144:145], v[20:21], v[144:145]              // 000000004840: D3B14090 18032114
	v_pk_mul_f32 v[146:147], v[20:21], v[146:147]              // 000000004848: D3B14092 18032514
	v_pk_mul_f32 v[148:149], v[20:21], v[148:149]              // 000000004850: D3B14094 18032914
	v_pk_mul_f32 v[150:151], v[20:21], v[150:151]              // 000000004858: D3B14096 18032D14
	v_pk_mul_f32 v[152:153], v[20:21], v[152:153]              // 000000004860: D3B14098 18033114
	v_pk_mul_f32 v[154:155], v[20:21], v[154:155]              // 000000004868: D3B1409A 18033514
	v_pk_mul_f32 v[156:157], v[20:21], v[156:157]              // 000000004870: D3B1409C 18033914
	v_pk_mul_f32 v[158:159], v[20:21], v[158:159]              // 000000004878: D3B1409E 18033D14
	s_setprio 0                                                // 000000004880: BF8F0000
	s_nop 15                                                   // 000000004884: BF80000F
	s_nop 7                                                    // 000000004888: BF800007
	buffer_load_dword v224, v8, s[16:19], s35 offen            // 00000000488C: E0501000 2304E008
	buffer_load_dword v225, v9, s[16:19], s35 offen            // 000000004894: E0501000 2304E109
	buffer_load_dword v226, v10, s[16:19], s35 offen           // 00000000489C: E0501000 2304E20A
	buffer_load_dword v227, v11, s[16:19], s35 offen           // 0000000048A4: E0501000 2304E30B
	s_add_i32 s35, s44, s35                                    // 0000000048AC: 8123232C
	s_nop 0                                                    // 0000000048B0: BF800000
	s_add_u32 s40, 0x60, s39                                   // 0000000048B4: 802827FF 00000060
	s_nop 0                                                    // 0000000048BC: BF800000
	s_cmp_lt_u32 s40, s38                                      // 0000000048C0: BF0A2628
	s_cselect_b32 s44, s44, 0                                  // 0000000048C4: 852C802C
	s_nop 0                                                    // 0000000048C8: BF800000
	ds_read_b128 v[192:195], v12                               // 0000000048CC: D9FE0000 C000000C
	ds_read_b128 v[196:199], v12 offset:32                     // 0000000048D4: D9FE0020 C400000C
	ds_read_b128 v[200:203], v12 offset:64                     // 0000000048DC: D9FE0040 C800000C
	ds_read_b128 v[204:207], v12 offset:96                     // 0000000048E4: D9FE0060 CC00000C
	ds_read_b128 v[208:211], v12 offset:128                    // 0000000048EC: D9FE0080 D000000C
	ds_read_b128 v[212:215], v12 offset:160                    // 0000000048F4: D9FE00A0 D400000C
	ds_read_b128 v[216:219], v12 offset:192                    // 0000000048FC: D9FE00C0 D800000C
	ds_read_b128 v[220:223], v12 offset:224                    // 000000004904: D9FE00E0 DC00000C
	s_add_i32 s52, s52, s53                                    // 00000000490C: 81343534
	s_addk_i32 s39, 0x20                                       // 000000004910: B7270020
	s_cmp_lt_i32 s39, s38                                      // 000000004914: BF042627
	s_nop 0                                                    // 000000004918: BF800000
	s_cbranch_scc0 label_0BEC                                  // 00000000491C: BF840664
	s_waitcnt lgkmcnt(0)                                       // 000000004920: BF8CC07F
	v_pk_add_f32 v[16:17], v[96:97], v[96:97]                  // 000000004924: D3B24010 1802C160
	v_mfma_f32_32x32x8_bf16 v[64:79], v[192:193], v[160:161], 0// 00000000492C: D3E00040 020341C0
	v_mfma_f32_32x32x8_bf16 v[64:79], v[194:195], v[162:163], v[64:79]// 000000004934: D3E00040 050345C2
	v_mfma_f32_32x32x8_bf16 v[64:79], v[196:197], v[164:165], v[64:79]// 00000000493C: D3E00040 050349C4
	v_mfma_f32_32x32x8_bf16 v[64:79], v[198:199], v[166:167], v[64:79]// 000000004944: D3E00040 05034DC6
	v_mfma_f32_32x32x8_bf16 v[64:79], v[200:201], v[168:169], v[64:79]// 00000000494C: D3E00040 050351C8
	v_mfma_f32_32x32x8_bf16 v[64:79], v[202:203], v[170:171], v[64:79]// 000000004954: D3E00040 050355CA
	v_mfma_f32_32x32x8_bf16 v[64:79], v[204:205], v[172:173], v[64:79]// 00000000495C: D3E00040 050359CC
	v_mfma_f32_32x32x8_bf16 v[64:79], v[206:207], v[174:175], v[64:79]// 000000004964: D3E00040 05035DCE
	v_mfma_f32_32x32x8_bf16 v[64:79], v[208:209], v[176:177], v[64:79]// 00000000496C: D3E00040 050361D0
	v_mfma_f32_32x32x8_bf16 v[64:79], v[210:211], v[178:179], v[64:79]// 000000004974: D3E00040 050365D2
	v_mfma_f32_32x32x8_bf16 v[64:79], v[212:213], v[180:181], v[64:79]// 00000000497C: D3E00040 050369D4
	v_mfma_f32_32x32x8_bf16 v[64:79], v[214:215], v[182:183], v[64:79]// 000000004984: D3E00040 05036DD6
	v_mfma_f32_32x32x8_bf16 v[64:79], v[216:217], v[184:185], v[64:79]// 00000000498C: D3E00040 050371D8
	v_mfma_f32_32x32x8_bf16 v[64:79], v[218:219], v[186:187], v[64:79]// 000000004994: D3E00040 050375DA
	v_mfma_f32_32x32x8_bf16 v[64:79], v[220:221], v[188:189], v[64:79]// 00000000499C: D3E00040 050379DC
	v_exp_f32_e32 v80, v80                                     // 0000000049A4: 7EA04150
	v_exp_f32_e32 v81, v81                                     // 0000000049A8: 7EA24151
	v_exp_f32_e32 v82, v82                                     // 0000000049AC: 7EA44152
	v_exp_f32_e32 v83, v83                                     // 0000000049B0: 7EA64153
	v_exp_f32_e32 v84, v84                                     // 0000000049B4: 7EA84154
	v_exp_f32_e32 v85, v85                                     // 0000000049B8: 7EAA4155
	v_exp_f32_e32 v86, v86                                     // 0000000049BC: 7EAC4156
	v_exp_f32_e32 v87, v87                                     // 0000000049C0: 7EAE4157
	v_exp_f32_e32 v88, v88                                     // 0000000049C4: 7EB04158
	v_exp_f32_e32 v89, v89                                     // 0000000049C8: 7EB24159
	v_exp_f32_e32 v90, v90                                     // 0000000049CC: 7EB4415A
	v_exp_f32_e32 v91, v91                                     // 0000000049D0: 7EB6415B
	v_exp_f32_e32 v92, v92                                     // 0000000049D4: 7EB8415C
	v_exp_f32_e32 v93, v93                                     // 0000000049D8: 7EBA415D
	v_exp_f32_e32 v94, v94                                     // 0000000049DC: 7EBC415E
	v_exp_f32_e32 v95, v95                                     // 0000000049E0: 7EBE415F
	v_mul_f32_e32 v22, v20, v22                                // 0000000049E4: 0A2C2D14
	v_pk_add_f32 v[38:39], v[80:81], v[82:83]                  // 0000000049E8: D3B24026 1802A550
	v_pk_add_f32 v[38:39], v[84:85], v[38:39]                  // 0000000049F0: D3B24026 18024D54
	v_pk_add_f32 v[38:39], v[86:87], v[38:39]                  // 0000000049F8: D3B24026 18024D56
	v_pk_add_f32 v[38:39], v[88:89], v[38:39]                  // 000000004A00: D3B24026 18024D58
	v_pk_add_f32 v[38:39], v[90:91], v[38:39]                  // 000000004A08: D3B24026 18024D5A
	v_pk_add_f32 v[38:39], v[92:93], v[38:39]                  // 000000004A10: D3B24026 18024D5C
	v_pk_add_f32 v[38:39], v[94:95], v[38:39]                  // 000000004A18: D3B24026 18024D5E
	v_add_f32_e32 v38, v38, v39                                // 000000004A20: 024C4F26
	v_add_f32_e32 v22, v38, v22                                // 000000004A24: 022C2D26
	v_cmp_u_f32_e64 s[70:71], v80, v80                         // 000000004A28: D0480046 0002A150
	v_bfe_u32 v40, v80, 16, 1                                  // 000000004A30: D1C80028 02052150
	v_add3_u32 v40, v80, v40, v43                              // 000000004A38: D1FF0028 04AE5150
	v_cndmask_b32_e64 v16, v40, v42, s[70:71]                  // 000000004A40: D1000010 011A5528
	v_lshrrev_b32_e32 v16, 16, v16                             // 000000004A48: 20202090
	v_cmp_u_f32_e64 s[70:71], v81, v81                         // 000000004A4C: D0480046 0002A351
	v_bfe_u32 v40, v81, 16, 1                                  // 000000004A54: D1C80028 02052151
	v_add3_u32 v40, v81, v40, v43                              // 000000004A5C: D1FF0028 04AE5151
	v_cndmask_b32_e64 v17, v40, v42, s[70:71]                  // 000000004A64: D1000011 011A5528
	v_and_or_b32 v80, v17, v41, v16                            // 000000004A6C: D2010050 04425311
	v_cmp_u_f32_e64 s[70:71], v82, v82                         // 000000004A74: D0480046 0002A552
	v_bfe_u32 v40, v82, 16, 1                                  // 000000004A7C: D1C80028 02052152
	v_add3_u32 v40, v82, v40, v43                              // 000000004A84: D1FF0028 04AE5152
	v_cndmask_b32_e64 v16, v40, v42, s[70:71]                  // 000000004A8C: D1000010 011A5528
	v_lshrrev_b32_e32 v16, 16, v16                             // 000000004A94: 20202090
	v_cmp_u_f32_e64 s[70:71], v83, v83                         // 000000004A98: D0480046 0002A753
	v_bfe_u32 v40, v83, 16, 1                                  // 000000004AA0: D1C80028 02052153
	v_add3_u32 v40, v83, v40, v43                              // 000000004AA8: D1FF0028 04AE5153
	v_cndmask_b32_e64 v17, v40, v42, s[70:71]                  // 000000004AB0: D1000011 011A5528
	v_and_or_b32 v81, v17, v41, v16                            // 000000004AB8: D2010051 04425311
	v_cmp_u_f32_e64 s[70:71], v84, v84                         // 000000004AC0: D0480046 0002A954
	v_bfe_u32 v40, v84, 16, 1                                  // 000000004AC8: D1C80028 02052154
	v_add3_u32 v40, v84, v40, v43                              // 000000004AD0: D1FF0028 04AE5154
	v_cndmask_b32_e64 v16, v40, v42, s[70:71]                  // 000000004AD8: D1000010 011A5528
	v_lshrrev_b32_e32 v16, 16, v16                             // 000000004AE0: 20202090
	v_cmp_u_f32_e64 s[70:71], v85, v85                         // 000000004AE4: D0480046 0002AB55
	v_bfe_u32 v40, v85, 16, 1                                  // 000000004AEC: D1C80028 02052155
	v_add3_u32 v40, v85, v40, v43                              // 000000004AF4: D1FF0028 04AE5155
	v_cndmask_b32_e64 v17, v40, v42, s[70:71]                  // 000000004AFC: D1000011 011A5528
	v_and_or_b32 v82, v17, v41, v16                            // 000000004B04: D2010052 04425311
	v_cmp_u_f32_e64 s[70:71], v86, v86                         // 000000004B0C: D0480046 0002AD56
	v_bfe_u32 v40, v86, 16, 1                                  // 000000004B14: D1C80028 02052156
	v_add3_u32 v40, v86, v40, v43                              // 000000004B1C: D1FF0028 04AE5156
	v_cndmask_b32_e64 v16, v40, v42, s[70:71]                  // 000000004B24: D1000010 011A5528
	v_lshrrev_b32_e32 v16, 16, v16                             // 000000004B2C: 20202090
	v_cmp_u_f32_e64 s[70:71], v87, v87                         // 000000004B30: D0480046 0002AF57
	v_bfe_u32 v40, v87, 16, 1                                  // 000000004B38: D1C80028 02052157
	v_add3_u32 v40, v87, v40, v43                              // 000000004B40: D1FF0028 04AE5157
	v_cndmask_b32_e64 v17, v40, v42, s[70:71]                  // 000000004B48: D1000011 011A5528
	v_and_or_b32 v83, v17, v41, v16                            // 000000004B50: D2010053 04425311
	v_cmp_u_f32_e64 s[70:71], v88, v88                         // 000000004B58: D0480046 0002B158
	v_bfe_u32 v40, v88, 16, 1                                  // 000000004B60: D1C80028 02052158
	v_add3_u32 v40, v88, v40, v43                              // 000000004B68: D1FF0028 04AE5158
	v_cndmask_b32_e64 v16, v40, v42, s[70:71]                  // 000000004B70: D1000010 011A5528
	v_lshrrev_b32_e32 v16, 16, v16                             // 000000004B78: 20202090
	v_cmp_u_f32_e64 s[70:71], v89, v89                         // 000000004B7C: D0480046 0002B359
	v_bfe_u32 v40, v89, 16, 1                                  // 000000004B84: D1C80028 02052159
	v_add3_u32 v40, v89, v40, v43                              // 000000004B8C: D1FF0028 04AE5159
	v_cndmask_b32_e64 v17, v40, v42, s[70:71]                  // 000000004B94: D1000011 011A5528
	v_and_or_b32 v84, v17, v41, v16                            // 000000004B9C: D2010054 04425311
	v_cmp_u_f32_e64 s[70:71], v90, v90                         // 000000004BA4: D0480046 0002B55A
	v_bfe_u32 v40, v90, 16, 1                                  // 000000004BAC: D1C80028 0205215A
	v_add3_u32 v40, v90, v40, v43                              // 000000004BB4: D1FF0028 04AE515A
	v_cndmask_b32_e64 v16, v40, v42, s[70:71]                  // 000000004BBC: D1000010 011A5528
	v_lshrrev_b32_e32 v16, 16, v16                             // 000000004BC4: 20202090
	v_cmp_u_f32_e64 s[70:71], v91, v91                         // 000000004BC8: D0480046 0002B75B
	v_bfe_u32 v40, v91, 16, 1                                  // 000000004BD0: D1C80028 0205215B
	v_add3_u32 v40, v91, v40, v43                              // 000000004BD8: D1FF0028 04AE515B
	v_cndmask_b32_e64 v17, v40, v42, s[70:71]                  // 000000004BE0: D1000011 011A5528
	v_and_or_b32 v85, v17, v41, v16                            // 000000004BE8: D2010055 04425311
	v_cmp_u_f32_e64 s[70:71], v92, v92                         // 000000004BF0: D0480046 0002B95C
	v_bfe_u32 v40, v92, 16, 1                                  // 000000004BF8: D1C80028 0205215C
	v_add3_u32 v40, v92, v40, v43                              // 000000004C00: D1FF0028 04AE515C
	v_cndmask_b32_e64 v16, v40, v42, s[70:71]                  // 000000004C08: D1000010 011A5528
	v_lshrrev_b32_e32 v16, 16, v16                             // 000000004C10: 20202090
	v_cmp_u_f32_e64 s[70:71], v93, v93                         // 000000004C14: D0480046 0002BB5D
	v_bfe_u32 v40, v93, 16, 1                                  // 000000004C1C: D1C80028 0205215D
	v_add3_u32 v40, v93, v40, v43                              // 000000004C24: D1FF0028 04AE515D
	v_cndmask_b32_e64 v17, v40, v42, s[70:71]                  // 000000004C2C: D1000011 011A5528
	v_and_or_b32 v86, v17, v41, v16                            // 000000004C34: D2010056 04425311
	v_cmp_u_f32_e64 s[70:71], v94, v94                         // 000000004C3C: D0480046 0002BD5E
	v_bfe_u32 v40, v94, 16, 1                                  // 000000004C44: D1C80028 0205215E
	v_add3_u32 v40, v94, v40, v43                              // 000000004C4C: D1FF0028 04AE515E
	v_cndmask_b32_e64 v16, v40, v42, s[70:71]                  // 000000004C54: D1000010 011A5528
	v_lshrrev_b32_e32 v16, 16, v16                             // 000000004C5C: 20202090
	v_cmp_u_f32_e64 s[70:71], v95, v95                         // 000000004C60: D0480046 0002BF5F
	v_bfe_u32 v40, v95, 16, 1                                  // 000000004C68: D1C80028 0205215F
	v_add3_u32 v40, v95, v40, v43                              // 000000004C70: D1FF0028 04AE515F
	v_cndmask_b32_e64 v17, v40, v42, s[70:71]                  // 000000004C78: D1000011 011A5528
	v_and_or_b32 v87, v17, v41, v16                            // 000000004C80: D2010057 04425311
	v_mfma_f32_32x32x8_bf16 v[64:79], v[222:223], v[190:191], v[64:79]// 000000004C88: D3E00040 05037DDE
	s_waitcnt vmcnt(8)                                         // 000000004C90: BF8C0F78
	s_barrier                                                  // 000000004C94: BF8A0000
	v_perm_b32 v232, v229, v228, s50                           // 000000004C98: D1ED00E8 00CBC9E5
	v_perm_b32 v234, v229, v228, s49                           // 000000004CA0: D1ED00EA 00C7C9E5
	v_perm_b32 v233, v231, v230, s50                           // 000000004CA8: D1ED00E9 00CBCDE7
	v_perm_b32 v235, v231, v230, s49                           // 000000004CB0: D1ED00EB 00C7CDE7
	ds_write_b64 v14, v[232:233] offset:17408                  // 000000004CB8: D89A4400 0000E80E
	ds_write_b64 v14, v[234:235] offset:21568                  // 000000004CC0: D89A5440 0000EA0E
	s_waitcnt lgkmcnt(0)                                       // 000000004CC8: BF8CC07F
	s_barrier                                                  // 000000004CCC: BF8A0000
	s_mov_b32 m0, s68                                          // 000000004CD0: BEFC0044
	buffer_load_dword v4, s[12:15], s60 offen lds              // 000000004CD4: E0511000 3C030004
	s_add_u32 m0, 0x880, m0                                    // 000000004CDC: 807C7CFF 00000880
	buffer_load_dword v5, s[12:15], s60 offen lds              // 000000004CE4: E0511000 3C030005
	s_add_u32 m0, 0x880, m0                                    // 000000004CEC: 807C7CFF 00000880
	buffer_load_dword v6, s[12:15], s60 offen lds              // 000000004CF4: E0511000 3C030006
	s_add_u32 m0, 0x880, m0                                    // 000000004CFC: 807C7CFF 00000880
	buffer_load_dword v7, s[12:15], s60 offen lds              // 000000004D04: E0511000 3C030007
	s_add_u32 m0, 0x880, m0                                    // 000000004D0C: 807C7CFF 00000880
	s_add_i32 s60, s43, s60                                    // 000000004D14: 813C3C2B
	s_nop 0                                                    // 000000004D18: BF800000
	s_add_u32 s40, 0x80, s39                                   // 000000004D1C: 802827FF 00000080
	s_nop 0                                                    // 000000004D24: BF800000
	s_cmp_lt_u32 s40, s38                                      // 000000004D28: BF0A2628
	s_cselect_b32 s43, s43, 0                                  // 000000004D2C: 852B802B
	ds_read_b64 v[192:193], v13 offset:17408                   // 000000004D30: D8EC4400 C000000D
	ds_read_b64 v[194:195], v13 offset:18432                   // 000000004D38: D8EC4800 C200000D
	ds_read_b64 v[196:197], v13 offset:19456                   // 000000004D40: D8EC4C00 C400000D
	ds_read_b64 v[198:199], v13 offset:20480                   // 000000004D48: D8EC5000 C600000D
	ds_read_b64 v[200:201], v13 offset:17536                   // 000000004D50: D8EC4480 C800000D
	ds_read_b64 v[202:203], v13 offset:18560                   // 000000004D58: D8EC4880 CA00000D
	ds_read_b64 v[204:205], v13 offset:19584                   // 000000004D60: D8EC4C80 CC00000D
	ds_read_b64 v[206:207], v13 offset:20608                   // 000000004D68: D8EC5080 CE00000D
	ds_read_b64 v[208:209], v13 offset:17664                   // 000000004D70: D8EC4500 D000000D
	ds_read_b64 v[210:211], v13 offset:18688                   // 000000004D78: D8EC4900 D200000D
	ds_read_b64 v[212:213], v13 offset:19712                   // 000000004D80: D8EC4D00 D400000D
	ds_read_b64 v[214:215], v13 offset:20736                   // 000000004D88: D8EC5100 D600000D
	ds_read_b64 v[216:217], v13 offset:17792                   // 000000004D90: D8EC4580 D800000D
	ds_read_b64 v[218:219], v13 offset:18816                   // 000000004D98: D8EC4980 DA00000D
	ds_read_b64 v[220:221], v13 offset:19840                   // 000000004DA0: D8EC4D80 DC00000D
	ds_read_b64 v[222:223], v13 offset:20864                   // 000000004DA8: D8EC5180 DE00000D
	s_nop 0                                                    // 000000004DB0: BF800000
	s_cmp_lt_i32 s52, s54                                      // 000000004DB4: BF043634
	s_cbranch_scc1 label_06F2                                  // 000000004DB8: BF850043
	s_sub_i32 s40, s7, s52                                     // 000000004DBC: 81A83407
	v_sub_i32 v16, s40, v30                                    // 000000004DC0: D29D0010 00023C28
	v_cmp_lt_i32_e64 s[72:73], 0, v16                          // 000000004DC8: D0C10048 00022080
	v_cmp_lt_i32_e64 s[74:75], 1, v16                          // 000000004DD0: D0C1004A 00022081
	v_cndmask_b32_e64 v64, v31, v64, s[72:73]                  // 000000004DD8: D1000040 0122811F
	v_cndmask_b32_e64 v65, v31, v65, s[74:75]                  // 000000004DE0: D1000041 012A831F
	v_cmp_lt_i32_e64 s[72:73], 2, v16                          // 000000004DE8: D0C10048 00022082
	v_cmp_lt_i32_e64 s[74:75], 3, v16                          // 000000004DF0: D0C1004A 00022083
	v_cndmask_b32_e64 v66, v31, v66, s[72:73]                  // 000000004DF8: D1000042 0122851F
	v_cndmask_b32_e64 v67, v31, v67, s[74:75]                  // 000000004E00: D1000043 012A871F
	v_cmp_lt_i32_e64 s[72:73], 8, v16                          // 000000004E08: D0C10048 00022088
	v_cmp_lt_i32_e64 s[74:75], 9, v16                          // 000000004E10: D0C1004A 00022089
	v_cndmask_b32_e64 v68, v31, v68, s[72:73]                  // 000000004E18: D1000044 0122891F
	v_cndmask_b32_e64 v69, v31, v69, s[74:75]                  // 000000004E20: D1000045 012A8B1F
	v_cmp_lt_i32_e64 s[72:73], 10, v16                         // 000000004E28: D0C10048 0002208A
	v_cmp_lt_i32_e64 s[74:75], 11, v16                         // 000000004E30: D0C1004A 0002208B
	v_cndmask_b32_e64 v70, v31, v70, s[72:73]                  // 000000004E38: D1000046 01228D1F
	v_cndmask_b32_e64 v71, v31, v71, s[74:75]                  // 000000004E40: D1000047 012A8F1F
	v_cmp_lt_i32_e64 s[72:73], 16, v16                         // 000000004E48: D0C10048 00022090
	v_cmp_lt_i32_e64 s[74:75], 17, v16                         // 000000004E50: D0C1004A 00022091
	v_cndmask_b32_e64 v72, v31, v72, s[72:73]                  // 000000004E58: D1000048 0122911F
	v_cndmask_b32_e64 v73, v31, v73, s[74:75]                  // 000000004E60: D1000049 012A931F
	v_cmp_lt_i32_e64 s[72:73], 18, v16                         // 000000004E68: D0C10048 00022092
	v_cmp_lt_i32_e64 s[74:75], 19, v16                         // 000000004E70: D0C1004A 00022093
	v_cndmask_b32_e64 v74, v31, v74, s[72:73]                  // 000000004E78: D100004A 0122951F
	v_cndmask_b32_e64 v75, v31, v75, s[74:75]                  // 000000004E80: D100004B 012A971F
	v_cmp_lt_i32_e64 s[72:73], 24, v16                         // 000000004E88: D0C10048 00022098
	v_cmp_lt_i32_e64 s[74:75], 25, v16                         // 000000004E90: D0C1004A 00022099
	v_cndmask_b32_e64 v76, v31, v76, s[72:73]                  // 000000004E98: D100004C 0122991F
	v_cndmask_b32_e64 v77, v31, v77, s[74:75]                  // 000000004EA0: D100004D 012A9B1F
	v_cmp_lt_i32_e64 s[72:73], 26, v16                         // 000000004EA8: D0C10048 0002209A
	v_cmp_lt_i32_e64 s[74:75], 27, v16                         // 000000004EB0: D0C1004A 0002209B
	v_cndmask_b32_e64 v78, v31, v78, s[72:73]                  // 000000004EB8: D100004E 01229D1F
	v_cndmask_b32_e64 v79, v31, v79, s[74:75]                  // 000000004EC0: D100004F 012A9F1F

0000000000004ec8 <label_06F2>:
	s_waitcnt lgkmcnt(0)                                       // 000000004EC8: BF8CC07F
	s_barrier                                                  // 000000004ECC: BF8A0000
	v_max3_f32 v25, v64, v65, v28                              // 000000004ED0: D1D30019 04728340
	v_max3_f32 v25, v66, v67, v25                              // 000000004ED8: D1D30019 04668742
	v_max3_f32 v25, v68, v69, v25                              // 000000004EE0: D1D30019 04668B44
	v_max3_f32 v25, v70, v71, v25                              // 000000004EE8: D1D30019 04668F46
	v_max3_f32 v25, v72, v73, v25                              // 000000004EF0: D1D30019 04669348
	v_max3_f32 v25, v74, v75, v25                              // 000000004EF8: D1D30019 0466974A
	v_max3_f32 v25, v76, v77, v25                              // 000000004F00: D1D30019 04669B4C
	v_max3_f32 v25, v78, v79, v25                              // 000000004F08: D1D30019 04669F4E
	v_mfma_f32_32x32x8_bf16 v[96:111], v[192:193], v[80:81], v[96:111]// 000000004F10: D3E00060 0582A1C0
	ds_permute_b32 v24, v32, v25                               // 000000004F18: D87C0000 18001920
	v_mfma_f32_32x32x8_bf16 v[96:111], v[194:195], v[82:83], v[96:111]// 000000004F20: D3E00060 0582A5C2
	v_mfma_f32_32x32x8_bf16 v[96:111], v[196:197], v[84:85], v[96:111]// 000000004F28: D3E00060 0582A9C4
	v_mfma_f32_32x32x8_bf16 v[96:111], v[198:199], v[86:87], v[96:111]// 000000004F30: D3E00060 0582ADC6
	v_mfma_f32_32x32x8_bf16 v[112:127], v[200:201], v[80:81], v[112:127]// 000000004F38: D3E00070 05C2A1C8
	v_mfma_f32_32x32x8_bf16 v[112:127], v[202:203], v[82:83], v[112:127]// 000000004F40: D3E00070 05C2A5CA
	v_mfma_f32_32x32x8_bf16 v[112:127], v[204:205], v[84:85], v[112:127]// 000000004F48: D3E00070 05C2A9CC
	v_mfma_f32_32x32x8_bf16 v[112:127], v[206:207], v[86:87], v[112:127]// 000000004F50: D3E00070 05C2ADCE
	v_mfma_f32_32x32x8_bf16 v[128:143], v[208:209], v[80:81], v[128:143]// 000000004F58: D3E00080 0602A1D0
	s_waitcnt lgkmcnt(0)                                       // 000000004F60: BF8CC07F
	v_mfma_f32_32x32x8_bf16 v[128:143], v[210:211], v[82:83], v[128:143]// 000000004F64: D3E00080 0602A5D2
	v_mfma_f32_32x32x8_bf16 v[128:143], v[212:213], v[84:85], v[128:143]// 000000004F6C: D3E00080 0602A9D4
	v_mfma_f32_32x32x8_bf16 v[128:143], v[214:215], v[86:87], v[128:143]// 000000004F74: D3E00080 0602ADD6
	v_mfma_f32_32x32x8_bf16 v[144:159], v[216:217], v[80:81], v[144:159]// 000000004F7C: D3E00090 0642A1D8
	v_mfma_f32_32x32x8_bf16 v[144:159], v[218:219], v[82:83], v[144:159]// 000000004F84: D3E00090 0642A5DA
	v_mfma_f32_32x32x8_bf16 v[144:159], v[220:221], v[84:85], v[144:159]// 000000004F8C: D3E00090 0642A9DC
	v_max_f32_e32 v25, v24, v25                                // 000000004F94: 16323318
	v_sub_f32_e32 v20, v28, v25                                // 000000004F98: 0428331C
	v_mov_b32_e32 v28, v25                                     // 000000004F9C: 7E380319
	v_mul_f32_e32 v27, s56, v25                                // 000000004FA0: 0A363238
	v_mul_f32_e32 v20, s56, v20                                // 000000004FA4: 0A282838
	v_exp_f32_e32 v20, v20                                     // 000000004FA8: 7E284114
	v_add_f32_e64 v36, 0, -v27                                 // 000000004FAC: D1010024 40023680
	v_mov_b32_e32 v37, v36                                     // 000000004FB4: 7E4A0324
	v_pk_fma_f32 v[64:65], v[64:65], s[56:57], v[36:37]        // 000000004FB8: D3B04040 1C907140
	v_pk_fma_f32 v[66:67], v[66:67], s[56:57], v[36:37]        // 000000004FC0: D3B04042 1C907142
	v_pk_fma_f32 v[68:69], v[68:69], s[56:57], v[36:37]        // 000000004FC8: D3B04044 1C907144
	v_pk_fma_f32 v[70:71], v[70:71], s[56:57], v[36:37]        // 000000004FD0: D3B04046 1C907146
	v_pk_fma_f32 v[72:73], v[72:73], s[56:57], v[36:37]        // 000000004FD8: D3B04048 1C907148
	v_pk_fma_f32 v[74:75], v[74:75], s[56:57], v[36:37]        // 000000004FE0: D3B0404A 1C90714A
	v_pk_fma_f32 v[76:77], v[76:77], s[56:57], v[36:37]        // 000000004FE8: D3B0404C 1C90714C
	v_pk_fma_f32 v[78:79], v[78:79], s[56:57], v[36:37]        // 000000004FF0: D3B0404E 1C90714E
	v_mfma_f32_32x32x8_bf16 v[144:159], v[222:223], v[86:87], v[144:159]// 000000004FF8: D3E00090 0642ADDE
	s_setprio 1                                                // 000000005000: BF8F0001
	s_waitcnt vmcnt(8)                                         // 000000005004: BF8C0F78
	s_barrier                                                  // 000000005008: BF8A0000
	v_mov_b32_e32 v21, v20                                     // 00000000500C: 7E2A0314
	v_mul_f32_e32 v96, v20, v96                                // 000000005010: 0AC0C114
	v_mul_f32_e32 v97, v20, v97                                // 000000005014: 0AC2C314
	v_pk_mul_f32 v[98:99], v[20:21], v[98:99]                  // 000000005018: D3B14062 1802C514
	v_pk_mul_f32 v[100:101], v[20:21], v[100:101]              // 000000005020: D3B14064 1802C914
	v_pk_mul_f32 v[102:103], v[20:21], v[102:103]              // 000000005028: D3B14066 1802CD14
	v_pk_mul_f32 v[104:105], v[20:21], v[104:105]              // 000000005030: D3B14068 1802D114
	v_pk_mul_f32 v[106:107], v[20:21], v[106:107]              // 000000005038: D3B1406A 1802D514
	v_pk_mul_f32 v[108:109], v[20:21], v[108:109]              // 000000005040: D3B1406C 1802D914
	v_pk_mul_f32 v[110:111], v[20:21], v[110:111]              // 000000005048: D3B1406E 1802DD14
	v_pk_mul_f32 v[112:113], v[20:21], v[112:113]              // 000000005050: D3B14070 1802E114
	v_pk_mul_f32 v[114:115], v[20:21], v[114:115]              // 000000005058: D3B14072 1802E514
	v_pk_mul_f32 v[116:117], v[20:21], v[116:117]              // 000000005060: D3B14074 1802E914
	v_pk_mul_f32 v[118:119], v[20:21], v[118:119]              // 000000005068: D3B14076 1802ED14
	v_pk_mul_f32 v[120:121], v[20:21], v[120:121]              // 000000005070: D3B14078 1802F114
	v_pk_mul_f32 v[122:123], v[20:21], v[122:123]              // 000000005078: D3B1407A 1802F514
	v_pk_mul_f32 v[124:125], v[20:21], v[124:125]              // 000000005080: D3B1407C 1802F914
	v_pk_mul_f32 v[126:127], v[20:21], v[126:127]              // 000000005088: D3B1407E 1802FD14
	v_pk_mul_f32 v[128:129], v[20:21], v[128:129]              // 000000005090: D3B14080 18030114
	v_pk_mul_f32 v[130:131], v[20:21], v[130:131]              // 000000005098: D3B14082 18030514
	v_pk_mul_f32 v[132:133], v[20:21], v[132:133]              // 0000000050A0: D3B14084 18030914
	v_pk_mul_f32 v[134:135], v[20:21], v[134:135]              // 0000000050A8: D3B14086 18030D14
	v_pk_mul_f32 v[136:137], v[20:21], v[136:137]              // 0000000050B0: D3B14088 18031114
	v_pk_mul_f32 v[138:139], v[20:21], v[138:139]              // 0000000050B8: D3B1408A 18031514
	v_pk_mul_f32 v[140:141], v[20:21], v[140:141]              // 0000000050C0: D3B1408C 18031914
	v_pk_mul_f32 v[142:143], v[20:21], v[142:143]              // 0000000050C8: D3B1408E 18031D14
	v_pk_mul_f32 v[144:145], v[20:21], v[144:145]              // 0000000050D0: D3B14090 18032114
	v_pk_mul_f32 v[146:147], v[20:21], v[146:147]              // 0000000050D8: D3B14092 18032514
	v_pk_mul_f32 v[148:149], v[20:21], v[148:149]              // 0000000050E0: D3B14094 18032914
	v_pk_mul_f32 v[150:151], v[20:21], v[150:151]              // 0000000050E8: D3B14096 18032D14
	v_pk_mul_f32 v[152:153], v[20:21], v[152:153]              // 0000000050F0: D3B14098 18033114
	v_pk_mul_f32 v[154:155], v[20:21], v[154:155]              // 0000000050F8: D3B1409A 18033514
	v_pk_mul_f32 v[156:157], v[20:21], v[156:157]              // 000000005100: D3B1409C 18033914
	v_pk_mul_f32 v[158:159], v[20:21], v[158:159]              // 000000005108: D3B1409E 18033D14
	s_nop 0                                                    // 000000005110: BF800000
	s_setprio 0                                                // 000000005114: BF8F0000
	s_nop 15                                                   // 000000005118: BF80000F
	s_nop 7                                                    // 00000000511C: BF800007
	buffer_load_dword v228, v8, s[16:19], s35 offen            // 000000005120: E0501000 2304E408
	buffer_load_dword v229, v9, s[16:19], s35 offen            // 000000005128: E0501000 2304E509
	buffer_load_dword v230, v10, s[16:19], s35 offen           // 000000005130: E0501000 2304E60A
	buffer_load_dword v231, v11, s[16:19], s35 offen           // 000000005138: E0501000 2304E70B
	s_add_i32 s35, s44, s35                                    // 000000005140: 8123232C
	s_nop 0                                                    // 000000005144: BF800000
	s_add_u32 s40, 0x60, s39                                   // 000000005148: 802827FF 00000060
	s_nop 0                                                    // 000000005150: BF800000
	s_cmp_lt_u32 s40, s38                                      // 000000005154: BF0A2628
	s_cselect_b32 s44, s44, 0                                  // 000000005158: 852C802C
	s_nop 0                                                    // 00000000515C: BF800000
	ds_read_b128 v[192:195], v12 offset:8704                   // 000000005160: D9FE2200 C000000C
	ds_read_b128 v[196:199], v12 offset:8736                   // 000000005168: D9FE2220 C400000C
	ds_read_b128 v[200:203], v12 offset:8768                   // 000000005170: D9FE2240 C800000C
	ds_read_b128 v[204:207], v12 offset:8800                   // 000000005178: D9FE2260 CC00000C
	ds_read_b128 v[208:211], v12 offset:8832                   // 000000005180: D9FE2280 D000000C
	ds_read_b128 v[212:215], v12 offset:8864                   // 000000005188: D9FE22A0 D400000C
	ds_read_b128 v[216:219], v12 offset:8896                   // 000000005190: D9FE22C0 D800000C
	ds_read_b128 v[220:223], v12 offset:8928                   // 000000005198: D9FE22E0 DC00000C
	s_add_i32 s52, s52, s53                                    // 0000000051A0: 81343534
	s_addk_i32 s39, 0x20                                       // 0000000051A4: B7270020
	s_cmp_lt_i32 s39, s38                                      // 0000000051A8: BF042627
	s_nop 0                                                    // 0000000051AC: BF800000
	s_cbranch_scc0 label_0BEC                                  // 0000000051B0: BF84043F
	s_branch label_0364                                        // 0000000051B4: BF82FBB6

00000000000051b8 <label_07AE>:
	s_setprio 1                                                // 0000000051B8: BF8F0001
	s_barrier                                                  // 0000000051BC: BF8A0000

00000000000051c0 <label_07B0>:
	buffer_load_dword v228, v8, s[16:19], s35 offen            // 0000000051C0: E0501000 2304E408
	buffer_load_dword v229, v9, s[16:19], s35 offen            // 0000000051C8: E0501000 2304E509
	buffer_load_dword v230, v10, s[16:19], s35 offen           // 0000000051D0: E0501000 2304E60A
	buffer_load_dword v231, v11, s[16:19], s35 offen           // 0000000051D8: E0501000 2304E70B
	s_add_i32 s35, s44, s35                                    // 0000000051E0: 8123232C
	s_nop 0                                                    // 0000000051E4: BF800000
	s_add_u32 s40, 64, s39                                     // 0000000051E8: 802827C0
	s_nop 0                                                    // 0000000051EC: BF800000
	s_cmp_lt_u32 s40, s38                                      // 0000000051F0: BF0A2628
	s_cselect_b32 s44, s44, 0                                  // 0000000051F4: 852C802C
	ds_read_b128 v[192:195], v12 offset:8704                   // 0000000051F8: D9FE2200 C000000C
	ds_read_b128 v[196:199], v12 offset:8736                   // 000000005200: D9FE2220 C400000C
	ds_read_b128 v[200:203], v12 offset:8768                   // 000000005208: D9FE2240 C800000C
	ds_read_b128 v[204:207], v12 offset:8800                   // 000000005210: D9FE2260 CC00000C
	ds_read_b128 v[208:211], v12 offset:8832                   // 000000005218: D9FE2280 D000000C
	ds_read_b128 v[212:215], v12 offset:8864                   // 000000005220: D9FE22A0 D400000C
	ds_read_b128 v[216:219], v12 offset:8896                   // 000000005228: D9FE22C0 D800000C
	ds_read_b128 v[220:223], v12 offset:8928                   // 000000005230: D9FE22E0 DC00000C
	s_waitcnt vmcnt(8) lgkmcnt(0)                              // 000000005238: BF8C0078
	s_barrier                                                  // 00000000523C: BF8A0000
	v_perm_b32 v232, v225, v224, s50                           // 000000005240: D1ED00E8 00CBC1E1
	v_perm_b32 v234, v225, v224, s49                           // 000000005248: D1ED00EA 00C7C1E1
	v_perm_b32 v233, v227, v226, s50                           // 000000005250: D1ED00E9 00CBC5E3
	v_perm_b32 v235, v227, v226, s49                           // 000000005258: D1ED00EB 00C7C5E3
	s_nop 3                                                    // 000000005260: BF800003
	v_mfma_f32_32x32x8_bf16 v[80:95], v[192:193], v[160:161], 0// 000000005264: D3E00050 020341C0
	ds_write_b64 v14, v[232:233] offset:17408                  // 00000000526C: D89A4400 0000E80E
	v_mfma_f32_32x32x8_bf16 v[80:95], v[194:195], v[162:163], v[80:95]// 000000005274: D3E00050 054345C2
	ds_write_b64 v14, v[234:235] offset:21568                  // 00000000527C: D89A5440 0000EA0E
	v_mfma_f32_32x32x8_bf16 v[80:95], v[196:197], v[164:165], v[80:95]// 000000005284: D3E00050 054349C4
	v_mfma_f32_32x32x8_bf16 v[80:95], v[198:199], v[166:167], v[80:95]// 00000000528C: D3E00050 05434DC6
	v_mfma_f32_32x32x8_bf16 v[80:95], v[200:201], v[168:169], v[80:95]// 000000005294: D3E00050 054351C8
	v_mfma_f32_32x32x8_bf16 v[80:95], v[202:203], v[170:171], v[80:95]// 00000000529C: D3E00050 054355CA
	v_mfma_f32_32x32x8_bf16 v[80:95], v[204:205], v[172:173], v[80:95]// 0000000052A4: D3E00050 054359CC
	s_waitcnt lgkmcnt(0)                                       // 0000000052AC: BF8CC07F
	s_barrier                                                  // 0000000052B0: BF8A0000
	v_mfma_f32_32x32x8_bf16 v[80:95], v[206:207], v[174:175], v[80:95]// 0000000052B4: D3E00050 05435DCE
	v_mfma_f32_32x32x8_bf16 v[80:95], v[208:209], v[176:177], v[80:95]// 0000000052BC: D3E00050 054361D0
	v_mfma_f32_32x32x8_bf16 v[80:95], v[210:211], v[178:179], v[80:95]// 0000000052C4: D3E00050 054365D2
	v_mfma_f32_32x32x8_bf16 v[80:95], v[212:213], v[180:181], v[80:95]// 0000000052CC: D3E00050 054369D4
	v_mfma_f32_32x32x8_bf16 v[80:95], v[214:215], v[182:183], v[80:95]// 0000000052D4: D3E00050 05436DD6
	v_mfma_f32_32x32x8_bf16 v[80:95], v[216:217], v[184:185], v[80:95]// 0000000052DC: D3E00050 054371D8
	v_mfma_f32_32x32x8_bf16 v[80:95], v[218:219], v[186:187], v[80:95]// 0000000052E4: D3E00050 054375DA
	v_mfma_f32_32x32x8_bf16 v[80:95], v[220:221], v[188:189], v[80:95]// 0000000052EC: D3E00050 054379DC
	v_exp_f32_e32 v64, v64                                     // 0000000052F4: 7E804140
	v_exp_f32_e32 v65, v65                                     // 0000000052F8: 7E824141
	v_exp_f32_e32 v66, v66                                     // 0000000052FC: 7E844142
	v_exp_f32_e32 v67, v67                                     // 000000005300: 7E864143
	v_exp_f32_e32 v68, v68                                     // 000000005304: 7E884144
	v_exp_f32_e32 v69, v69                                     // 000000005308: 7E8A4145
	v_exp_f32_e32 v70, v70                                     // 00000000530C: 7E8C4146
	v_exp_f32_e32 v71, v71                                     // 000000005310: 7E8E4147
	v_exp_f32_e32 v72, v72                                     // 000000005314: 7E904148
	v_exp_f32_e32 v73, v73                                     // 000000005318: 7E924149
	v_exp_f32_e32 v74, v74                                     // 00000000531C: 7E94414A
	v_exp_f32_e32 v75, v75                                     // 000000005320: 7E96414B
	v_exp_f32_e32 v76, v76                                     // 000000005324: 7E98414C
	v_exp_f32_e32 v77, v77                                     // 000000005328: 7E9A414D
	v_exp_f32_e32 v78, v78                                     // 00000000532C: 7E9C414E
	v_exp_f32_e32 v79, v79                                     // 000000005330: 7E9E414F
	v_mul_f32_e32 v22, v20, v22                                // 000000005334: 0A2C2D14
	v_pk_add_f32 v[38:39], v[64:65], v[66:67]                  // 000000005338: D3B24026 18028540
	v_pk_add_f32 v[38:39], v[68:69], v[38:39]                  // 000000005340: D3B24026 18024D44
	v_pk_add_f32 v[38:39], v[70:71], v[38:39]                  // 000000005348: D3B24026 18024D46
	v_pk_add_f32 v[38:39], v[72:73], v[38:39]                  // 000000005350: D3B24026 18024D48
	v_pk_add_f32 v[38:39], v[74:75], v[38:39]                  // 000000005358: D3B24026 18024D4A
	v_pk_add_f32 v[38:39], v[76:77], v[38:39]                  // 000000005360: D3B24026 18024D4C
	v_pk_add_f32 v[38:39], v[78:79], v[38:39]                  // 000000005368: D3B24026 18024D4E
	v_add_f32_e32 v38, v38, v39                                // 000000005370: 024C4F26
	v_add_f32_e32 v22, v38, v22                                // 000000005374: 022C2D26
	v_cmp_u_f32_e64 s[70:71], v64, v64                         // 000000005378: D0480046 00028140
	v_bfe_u32 v40, v64, 16, 1                                  // 000000005380: D1C80028 02052140
	v_add3_u32 v40, v64, v40, v43                              // 000000005388: D1FF0028 04AE5140
	v_cndmask_b32_e64 v16, v40, v42, s[70:71]                  // 000000005390: D1000010 011A5528
	v_lshrrev_b32_e32 v16, 16, v16                             // 000000005398: 20202090
	v_cmp_u_f32_e64 s[70:71], v65, v65                         // 00000000539C: D0480046 00028341
	v_bfe_u32 v40, v65, 16, 1                                  // 0000000053A4: D1C80028 02052141
	v_add3_u32 v40, v65, v40, v43                              // 0000000053AC: D1FF0028 04AE5141
	v_cndmask_b32_e64 v17, v40, v42, s[70:71]                  // 0000000053B4: D1000011 011A5528
	v_and_or_b32 v64, v17, v41, v16                            // 0000000053BC: D2010040 04425311
	v_cmp_u_f32_e64 s[70:71], v66, v66                         // 0000000053C4: D0480046 00028542
	v_bfe_u32 v40, v66, 16, 1                                  // 0000000053CC: D1C80028 02052142
	v_add3_u32 v40, v66, v40, v43                              // 0000000053D4: D1FF0028 04AE5142
	v_cndmask_b32_e64 v16, v40, v42, s[70:71]                  // 0000000053DC: D1000010 011A5528
	v_lshrrev_b32_e32 v16, 16, v16                             // 0000000053E4: 20202090
	v_cmp_u_f32_e64 s[70:71], v67, v67                         // 0000000053E8: D0480046 00028743
	v_bfe_u32 v40, v67, 16, 1                                  // 0000000053F0: D1C80028 02052143
	v_add3_u32 v40, v67, v40, v43                              // 0000000053F8: D1FF0028 04AE5143
	v_cndmask_b32_e64 v17, v40, v42, s[70:71]                  // 000000005400: D1000011 011A5528
	v_and_or_b32 v65, v17, v41, v16                            // 000000005408: D2010041 04425311
	v_cmp_u_f32_e64 s[70:71], v68, v68                         // 000000005410: D0480046 00028944
	v_bfe_u32 v40, v68, 16, 1                                  // 000000005418: D1C80028 02052144
	v_add3_u32 v40, v68, v40, v43                              // 000000005420: D1FF0028 04AE5144
	v_cndmask_b32_e64 v16, v40, v42, s[70:71]                  // 000000005428: D1000010 011A5528
	v_lshrrev_b32_e32 v16, 16, v16                             // 000000005430: 20202090
	v_cmp_u_f32_e64 s[70:71], v69, v69                         // 000000005434: D0480046 00028B45
	v_bfe_u32 v40, v69, 16, 1                                  // 00000000543C: D1C80028 02052145
	v_add3_u32 v40, v69, v40, v43                              // 000000005444: D1FF0028 04AE5145
	v_cndmask_b32_e64 v17, v40, v42, s[70:71]                  // 00000000544C: D1000011 011A5528
	v_and_or_b32 v66, v17, v41, v16                            // 000000005454: D2010042 04425311
	v_cmp_u_f32_e64 s[70:71], v70, v70                         // 00000000545C: D0480046 00028D46
	v_bfe_u32 v40, v70, 16, 1                                  // 000000005464: D1C80028 02052146
	v_add3_u32 v40, v70, v40, v43                              // 00000000546C: D1FF0028 04AE5146
	v_cndmask_b32_e64 v16, v40, v42, s[70:71]                  // 000000005474: D1000010 011A5528
	v_lshrrev_b32_e32 v16, 16, v16                             // 00000000547C: 20202090
	v_cmp_u_f32_e64 s[70:71], v71, v71                         // 000000005480: D0480046 00028F47
	v_bfe_u32 v40, v71, 16, 1                                  // 000000005488: D1C80028 02052147
	v_add3_u32 v40, v71, v40, v43                              // 000000005490: D1FF0028 04AE5147
	v_cndmask_b32_e64 v17, v40, v42, s[70:71]                  // 000000005498: D1000011 011A5528
	v_and_or_b32 v67, v17, v41, v16                            // 0000000054A0: D2010043 04425311
	v_cmp_u_f32_e64 s[70:71], v72, v72                         // 0000000054A8: D0480046 00029148
	v_bfe_u32 v40, v72, 16, 1                                  // 0000000054B0: D1C80028 02052148
	v_add3_u32 v40, v72, v40, v43                              // 0000000054B8: D1FF0028 04AE5148
	v_cndmask_b32_e64 v16, v40, v42, s[70:71]                  // 0000000054C0: D1000010 011A5528
	v_lshrrev_b32_e32 v16, 16, v16                             // 0000000054C8: 20202090
	v_cmp_u_f32_e64 s[70:71], v73, v73                         // 0000000054CC: D0480046 00029349
	v_bfe_u32 v40, v73, 16, 1                                  // 0000000054D4: D1C80028 02052149
	v_add3_u32 v40, v73, v40, v43                              // 0000000054DC: D1FF0028 04AE5149
	v_cndmask_b32_e64 v17, v40, v42, s[70:71]                  // 0000000054E4: D1000011 011A5528
	v_and_or_b32 v68, v17, v41, v16                            // 0000000054EC: D2010044 04425311
	v_cmp_u_f32_e64 s[70:71], v74, v74                         // 0000000054F4: D0480046 0002954A
	v_bfe_u32 v40, v74, 16, 1                                  // 0000000054FC: D1C80028 0205214A
	v_add3_u32 v40, v74, v40, v43                              // 000000005504: D1FF0028 04AE514A
	v_cndmask_b32_e64 v16, v40, v42, s[70:71]                  // 00000000550C: D1000010 011A5528
	v_lshrrev_b32_e32 v16, 16, v16                             // 000000005514: 20202090
	v_cmp_u_f32_e64 s[70:71], v75, v75                         // 000000005518: D0480046 0002974B
	v_bfe_u32 v40, v75, 16, 1                                  // 000000005520: D1C80028 0205214B
	v_add3_u32 v40, v75, v40, v43                              // 000000005528: D1FF0028 04AE514B
	v_cndmask_b32_e64 v17, v40, v42, s[70:71]                  // 000000005530: D1000011 011A5528
	v_and_or_b32 v69, v17, v41, v16                            // 000000005538: D2010045 04425311
	v_cmp_u_f32_e64 s[70:71], v76, v76                         // 000000005540: D0480046 0002994C
	v_bfe_u32 v40, v76, 16, 1                                  // 000000005548: D1C80028 0205214C
	v_add3_u32 v40, v76, v40, v43                              // 000000005550: D1FF0028 04AE514C
	v_cndmask_b32_e64 v16, v40, v42, s[70:71]                  // 000000005558: D1000010 011A5528
	v_lshrrev_b32_e32 v16, 16, v16                             // 000000005560: 20202090
	v_cmp_u_f32_e64 s[70:71], v77, v77                         // 000000005564: D0480046 00029B4D
	v_bfe_u32 v40, v77, 16, 1                                  // 00000000556C: D1C80028 0205214D
	v_add3_u32 v40, v77, v40, v43                              // 000000005574: D1FF0028 04AE514D
	v_cndmask_b32_e64 v17, v40, v42, s[70:71]                  // 00000000557C: D1000011 011A5528
	v_and_or_b32 v70, v17, v41, v16                            // 000000005584: D2010046 04425311
	v_cmp_u_f32_e64 s[70:71], v78, v78                         // 00000000558C: D0480046 00029D4E
	v_bfe_u32 v40, v78, 16, 1                                  // 000000005594: D1C80028 0205214E
	v_add3_u32 v40, v78, v40, v43                              // 00000000559C: D1FF0028 04AE514E
	v_cndmask_b32_e64 v16, v40, v42, s[70:71]                  // 0000000055A4: D1000010 011A5528
	v_lshrrev_b32_e32 v16, 16, v16                             // 0000000055AC: 20202090
	v_cmp_u_f32_e64 s[70:71], v79, v79                         // 0000000055B0: D0480046 00029F4F
	v_bfe_u32 v40, v79, 16, 1                                  // 0000000055B8: D1C80028 0205214F
	v_add3_u32 v40, v79, v40, v43                              // 0000000055C0: D1FF0028 04AE514F
	v_cndmask_b32_e64 v17, v40, v42, s[70:71]                  // 0000000055C8: D1000011 011A5528
	v_and_or_b32 v71, v17, v41, v16                            // 0000000055D0: D2010047 04425311
	v_mfma_f32_32x32x8_bf16 v[80:95], v[222:223], v[190:191], v[80:95]// 0000000055D8: D3E00050 05437DDE
	s_barrier                                                  // 0000000055E0: BF8A0000
	s_cmp_lt_i32 s52, s54                                      // 0000000055E4: BF043634
	s_cbranch_scc1 label_08FE                                  // 0000000055E8: BF850043
	s_sub_i32 s40, s7, s52                                     // 0000000055EC: 81A83407
	v_sub_i32 v16, s40, v30                                    // 0000000055F0: D29D0010 00023C28
	v_cmp_lt_i32_e64 s[72:73], 0, v16                          // 0000000055F8: D0C10048 00022080
	v_cmp_lt_i32_e64 s[74:75], 1, v16                          // 000000005600: D0C1004A 00022081
	v_cndmask_b32_e64 v80, v31, v80, s[72:73]                  // 000000005608: D1000050 0122A11F
	v_cndmask_b32_e64 v81, v31, v81, s[74:75]                  // 000000005610: D1000051 012AA31F
	v_cmp_lt_i32_e64 s[72:73], 2, v16                          // 000000005618: D0C10048 00022082
	v_cmp_lt_i32_e64 s[74:75], 3, v16                          // 000000005620: D0C1004A 00022083
	v_cndmask_b32_e64 v82, v31, v82, s[72:73]                  // 000000005628: D1000052 0122A51F
	v_cndmask_b32_e64 v83, v31, v83, s[74:75]                  // 000000005630: D1000053 012AA71F
	v_cmp_lt_i32_e64 s[72:73], 8, v16                          // 000000005638: D0C10048 00022088
	v_cmp_lt_i32_e64 s[74:75], 9, v16                          // 000000005640: D0C1004A 00022089
	v_cndmask_b32_e64 v84, v31, v84, s[72:73]                  // 000000005648: D1000054 0122A91F
	v_cndmask_b32_e64 v85, v31, v85, s[74:75]                  // 000000005650: D1000055 012AAB1F
	v_cmp_lt_i32_e64 s[72:73], 10, v16                         // 000000005658: D0C10048 0002208A
	v_cmp_lt_i32_e64 s[74:75], 11, v16                         // 000000005660: D0C1004A 0002208B
	v_cndmask_b32_e64 v86, v31, v86, s[72:73]                  // 000000005668: D1000056 0122AD1F
	v_cndmask_b32_e64 v87, v31, v87, s[74:75]                  // 000000005670: D1000057 012AAF1F
	v_cmp_lt_i32_e64 s[72:73], 16, v16                         // 000000005678: D0C10048 00022090
	v_cmp_lt_i32_e64 s[74:75], 17, v16                         // 000000005680: D0C1004A 00022091
	v_cndmask_b32_e64 v88, v31, v88, s[72:73]                  // 000000005688: D1000058 0122B11F
	v_cndmask_b32_e64 v89, v31, v89, s[74:75]                  // 000000005690: D1000059 012AB31F
	v_cmp_lt_i32_e64 s[72:73], 18, v16                         // 000000005698: D0C10048 00022092
	v_cmp_lt_i32_e64 s[74:75], 19, v16                         // 0000000056A0: D0C1004A 00022093
	v_cndmask_b32_e64 v90, v31, v90, s[72:73]                  // 0000000056A8: D100005A 0122B51F
	v_cndmask_b32_e64 v91, v31, v91, s[74:75]                  // 0000000056B0: D100005B 012AB71F
	v_cmp_lt_i32_e64 s[72:73], 24, v16                         // 0000000056B8: D0C10048 00022098
	v_cmp_lt_i32_e64 s[74:75], 25, v16                         // 0000000056C0: D0C1004A 00022099
	v_cndmask_b32_e64 v92, v31, v92, s[72:73]                  // 0000000056C8: D100005C 0122B91F
	v_cndmask_b32_e64 v93, v31, v93, s[74:75]                  // 0000000056D0: D100005D 012ABB1F
	v_cmp_lt_i32_e64 s[72:73], 26, v16                         // 0000000056D8: D0C10048 0002209A
	v_cmp_lt_i32_e64 s[74:75], 27, v16                         // 0000000056E0: D0C1004A 0002209B
	v_cndmask_b32_e64 v94, v31, v94, s[72:73]                  // 0000000056E8: D100005E 0122BD1F
	v_cndmask_b32_e64 v95, v31, v95, s[74:75]                  // 0000000056F0: D100005F 012ABF1F

00000000000056f8 <label_08FE>:
	s_nop 0                                                    // 0000000056F8: BF800000
	s_mov_b32 m0, s69                                          // 0000000056FC: BEFC0045
	buffer_load_dword v4, s[12:15], s60 offen lds              // 000000005700: E0511000 3C030004
	s_add_u32 m0, 0x880, m0                                    // 000000005708: 807C7CFF 00000880
	buffer_load_dword v5, s[12:15], s60 offen lds              // 000000005710: E0511000 3C030005
	s_add_u32 m0, 0x880, m0                                    // 000000005718: 807C7CFF 00000880
	buffer_load_dword v6, s[12:15], s60 offen lds              // 000000005720: E0511000 3C030006
	s_add_u32 m0, 0x880, m0                                    // 000000005728: 807C7CFF 00000880
	buffer_load_dword v7, s[12:15], s60 offen lds              // 000000005730: E0511000 3C030007
	s_add_u32 m0, 0x880, m0                                    // 000000005738: 807C7CFF 00000880
	s_add_i32 s60, s43, s60                                    // 000000005740: 813C3C2B
	s_nop 0                                                    // 000000005744: BF800000
	s_add_u32 s40, 0x80, s39                                   // 000000005748: 802827FF 00000080
	s_nop 0                                                    // 000000005750: BF800000
	s_cmp_lt_u32 s40, s38                                      // 000000005754: BF0A2628
	s_cselect_b32 s43, s43, 0                                  // 000000005758: 852B802B
	s_nop 7                                                    // 00000000575C: BF800007
	ds_read_b64 v[192:193], v13 offset:17408                   // 000000005760: D8EC4400 C000000D
	ds_read_b64 v[194:195], v13 offset:18432                   // 000000005768: D8EC4800 C200000D
	ds_read_b64 v[196:197], v13 offset:19456                   // 000000005770: D8EC4C00 C400000D
	ds_read_b64 v[198:199], v13 offset:20480                   // 000000005778: D8EC5000 C600000D
	ds_read_b64 v[200:201], v13 offset:17536                   // 000000005780: D8EC4480 C800000D
	ds_read_b64 v[202:203], v13 offset:18560                   // 000000005788: D8EC4880 CA00000D
	ds_read_b64 v[204:205], v13 offset:19584                   // 000000005790: D8EC4C80 CC00000D
	ds_read_b64 v[206:207], v13 offset:20608                   // 000000005798: D8EC5080 CE00000D
	ds_read_b64 v[208:209], v13 offset:17664                   // 0000000057A0: D8EC4500 D000000D
	ds_read_b64 v[210:211], v13 offset:18688                   // 0000000057A8: D8EC4900 D200000D
	ds_read_b64 v[212:213], v13 offset:19712                   // 0000000057B0: D8EC4D00 D400000D
	ds_read_b64 v[214:215], v13 offset:20736                   // 0000000057B8: D8EC5100 D600000D
	ds_read_b64 v[216:217], v13 offset:17792                   // 0000000057C0: D8EC4580 D800000D
	ds_read_b64 v[218:219], v13 offset:18816                   // 0000000057C8: D8EC4980 DA00000D
	ds_read_b64 v[220:221], v13 offset:19840                   // 0000000057D0: D8EC4D80 DC00000D
	ds_read_b64 v[222:223], v13 offset:20864                   // 0000000057D8: D8EC5180 DE00000D
	s_nop 0                                                    // 0000000057E0: BF800000
	s_add_i32 s52, s52, s53                                    // 0000000057E4: 81343534
	s_addk_i32 s39, 0x20                                       // 0000000057E8: B7270020
	s_cmp_lt_i32 s39, s38                                      // 0000000057EC: BF042627
	s_waitcnt vmcnt(8) lgkmcnt(0)                              // 0000000057F0: BF8C0078
	s_barrier                                                  // 0000000057F4: BF8A0000
	v_max3_f32 v25, v80, v81, v28                              // 0000000057F8: D1D30019 0472A350
	v_max3_f32 v25, v82, v83, v25                              // 000000005800: D1D30019 0466A752
	v_max3_f32 v25, v84, v85, v25                              // 000000005808: D1D30019 0466AB54
	v_max3_f32 v25, v86, v87, v25                              // 000000005810: D1D30019 0466AF56
	v_max3_f32 v25, v88, v89, v25                              // 000000005818: D1D30019 0466B358
	v_max3_f32 v25, v90, v91, v25                              // 000000005820: D1D30019 0466B75A
	v_max3_f32 v25, v92, v93, v25                              // 000000005828: D1D30019 0466BB5C
	v_max3_f32 v25, v94, v95, v25                              // 000000005830: D1D30019 0466BF5E
	v_mfma_f32_32x32x8_bf16 v[96:111], v[192:193], v[64:65], v[96:111]// 000000005838: D3E00060 058281C0
	ds_permute_b32 v24, v32, v25                               // 000000005840: D87C0000 18001920
	v_mfma_f32_32x32x8_bf16 v[96:111], v[194:195], v[66:67], v[96:111]// 000000005848: D3E00060 058285C2
	v_mfma_f32_32x32x8_bf16 v[96:111], v[196:197], v[68:69], v[96:111]// 000000005850: D3E00060 058289C4
	v_mfma_f32_32x32x8_bf16 v[96:111], v[198:199], v[70:71], v[96:111]// 000000005858: D3E00060 05828DC6
	v_mfma_f32_32x32x8_bf16 v[112:127], v[200:201], v[64:65], v[112:127]// 000000005860: D3E00070 05C281C8
	v_mfma_f32_32x32x8_bf16 v[112:127], v[202:203], v[66:67], v[112:127]// 000000005868: D3E00070 05C285CA
	v_mfma_f32_32x32x8_bf16 v[112:127], v[204:205], v[68:69], v[112:127]// 000000005870: D3E00070 05C289CC
	v_mfma_f32_32x32x8_bf16 v[112:127], v[206:207], v[70:71], v[112:127]// 000000005878: D3E00070 05C28DCE
	v_mfma_f32_32x32x8_bf16 v[128:143], v[208:209], v[64:65], v[128:143]// 000000005880: D3E00080 060281D0
	s_waitcnt lgkmcnt(0)                                       // 000000005888: BF8CC07F
	v_mfma_f32_32x32x8_bf16 v[128:143], v[210:211], v[66:67], v[128:143]// 00000000588C: D3E00080 060285D2
	v_mfma_f32_32x32x8_bf16 v[128:143], v[212:213], v[68:69], v[128:143]// 000000005894: D3E00080 060289D4
	v_mfma_f32_32x32x8_bf16 v[128:143], v[214:215], v[70:71], v[128:143]// 00000000589C: D3E00080 06028DD6
	v_mfma_f32_32x32x8_bf16 v[144:159], v[216:217], v[64:65], v[144:159]// 0000000058A4: D3E00090 064281D8
	v_mfma_f32_32x32x8_bf16 v[144:159], v[218:219], v[66:67], v[144:159]// 0000000058AC: D3E00090 064285DA
	v_mfma_f32_32x32x8_bf16 v[144:159], v[220:221], v[68:69], v[144:159]// 0000000058B4: D3E00090 064289DC
	v_mfma_f32_32x32x8_bf16 v[144:159], v[222:223], v[70:71], v[144:159]// 0000000058BC: D3E00090 06428DDE
	v_max_f32_e32 v25, v24, v25                                // 0000000058C4: 16323318
	v_sub_f32_e32 v20, v28, v25                                // 0000000058C8: 0428331C
	v_mov_b32_e32 v28, v25                                     // 0000000058CC: 7E380319
	v_mul_f32_e32 v27, s56, v25                                // 0000000058D0: 0A363238
	v_mul_f32_e32 v20, s56, v20                                // 0000000058D4: 0A282838
	v_exp_f32_e32 v20, v20                                     // 0000000058D8: 7E284114
	v_add_f32_e64 v36, 0, -v27                                 // 0000000058DC: D1010024 40023680
	v_mov_b32_e32 v37, v36                                     // 0000000058E4: 7E4A0324
	v_pk_fma_f32 v[80:81], v[80:81], s[56:57], v[36:37]        // 0000000058E8: D3B04050 1C907150
	v_pk_fma_f32 v[82:83], v[82:83], s[56:57], v[36:37]        // 0000000058F0: D3B04052 1C907152
	v_pk_fma_f32 v[84:85], v[84:85], s[56:57], v[36:37]        // 0000000058F8: D3B04054 1C907154
	v_pk_fma_f32 v[86:87], v[86:87], s[56:57], v[36:37]        // 000000005900: D3B04056 1C907156
	v_pk_fma_f32 v[88:89], v[88:89], s[56:57], v[36:37]        // 000000005908: D3B04058 1C907158
	v_pk_fma_f32 v[90:91], v[90:91], s[56:57], v[36:37]        // 000000005910: D3B0405A 1C90715A
	v_pk_fma_f32 v[92:93], v[92:93], s[56:57], v[36:37]        // 000000005918: D3B0405C 1C90715C
	v_pk_fma_f32 v[94:95], v[94:95], s[56:57], v[36:37]        // 000000005920: D3B0405E 1C90715E
	v_nop                                                      // 000000005928: 7E000000
	v_mov_b32_e32 v21, v20                                     // 00000000592C: 7E2A0314
	v_mul_f32_e32 v96, v20, v96                                // 000000005930: 0AC0C114
	v_mul_f32_e32 v97, v20, v97                                // 000000005934: 0AC2C314
	v_pk_mul_f32 v[98:99], v[20:21], v[98:99]                  // 000000005938: D3B14062 1802C514
	v_pk_mul_f32 v[100:101], v[20:21], v[100:101]              // 000000005940: D3B14064 1802C914
	v_pk_mul_f32 v[102:103], v[20:21], v[102:103]              // 000000005948: D3B14066 1802CD14
	v_pk_mul_f32 v[104:105], v[20:21], v[104:105]              // 000000005950: D3B14068 1802D114
	v_pk_mul_f32 v[106:107], v[20:21], v[106:107]              // 000000005958: D3B1406A 1802D514
	v_pk_mul_f32 v[108:109], v[20:21], v[108:109]              // 000000005960: D3B1406C 1802D914
	v_pk_mul_f32 v[110:111], v[20:21], v[110:111]              // 000000005968: D3B1406E 1802DD14
	v_pk_mul_f32 v[112:113], v[20:21], v[112:113]              // 000000005970: D3B14070 1802E114
	v_pk_mul_f32 v[114:115], v[20:21], v[114:115]              // 000000005978: D3B14072 1802E514
	v_pk_mul_f32 v[116:117], v[20:21], v[116:117]              // 000000005980: D3B14074 1802E914
	v_pk_mul_f32 v[118:119], v[20:21], v[118:119]              // 000000005988: D3B14076 1802ED14
	v_pk_mul_f32 v[120:121], v[20:21], v[120:121]              // 000000005990: D3B14078 1802F114
	v_pk_mul_f32 v[122:123], v[20:21], v[122:123]              // 000000005998: D3B1407A 1802F514
	v_pk_mul_f32 v[124:125], v[20:21], v[124:125]              // 0000000059A0: D3B1407C 1802F914
	v_pk_mul_f32 v[126:127], v[20:21], v[126:127]              // 0000000059A8: D3B1407E 1802FD14
	v_pk_mul_f32 v[128:129], v[20:21], v[128:129]              // 0000000059B0: D3B14080 18030114
	v_pk_mul_f32 v[130:131], v[20:21], v[130:131]              // 0000000059B8: D3B14082 18030514
	v_pk_mul_f32 v[132:133], v[20:21], v[132:133]              // 0000000059C0: D3B14084 18030914
	v_pk_mul_f32 v[134:135], v[20:21], v[134:135]              // 0000000059C8: D3B14086 18030D14
	v_pk_mul_f32 v[136:137], v[20:21], v[136:137]              // 0000000059D0: D3B14088 18031114
	v_pk_mul_f32 v[138:139], v[20:21], v[138:139]              // 0000000059D8: D3B1408A 18031514
	v_pk_mul_f32 v[140:141], v[20:21], v[140:141]              // 0000000059E0: D3B1408C 18031914
	v_pk_mul_f32 v[142:143], v[20:21], v[142:143]              // 0000000059E8: D3B1408E 18031D14
	v_pk_mul_f32 v[144:145], v[20:21], v[144:145]              // 0000000059F0: D3B14090 18032114
	v_pk_mul_f32 v[146:147], v[20:21], v[146:147]              // 0000000059F8: D3B14092 18032514
	v_pk_mul_f32 v[148:149], v[20:21], v[148:149]              // 000000005A00: D3B14094 18032914
	v_pk_mul_f32 v[150:151], v[20:21], v[150:151]              // 000000005A08: D3B14096 18032D14
	v_pk_mul_f32 v[152:153], v[20:21], v[152:153]              // 000000005A10: D3B14098 18033114
	v_pk_mul_f32 v[154:155], v[20:21], v[154:155]              // 000000005A18: D3B1409A 18033514
	v_pk_mul_f32 v[156:157], v[20:21], v[156:157]              // 000000005A20: D3B1409C 18033914
	v_pk_mul_f32 v[158:159], v[20:21], v[158:159]              // 000000005A28: D3B1409E 18033D14
	s_cbranch_scc0 label_0BEC                                  // 000000005A30: BF84021F
	s_nop 0                                                    // 000000005A34: BF800000
	buffer_load_dword v224, v8, s[16:19], s35 offen            // 000000005A38: E0501000 2304E008
	buffer_load_dword v225, v9, s[16:19], s35 offen            // 000000005A40: E0501000 2304E109
	buffer_load_dword v226, v10, s[16:19], s35 offen           // 000000005A48: E0501000 2304E20A
	buffer_load_dword v227, v11, s[16:19], s35 offen           // 000000005A50: E0501000 2304E30B
	s_add_i32 s35, s44, s35                                    // 000000005A58: 8123232C
	s_nop 0                                                    // 000000005A5C: BF800000
	s_add_u32 s40, 64, s39                                     // 000000005A60: 802827C0
	s_nop 0                                                    // 000000005A64: BF800000
	s_cmp_lt_u32 s40, s38                                      // 000000005A68: BF0A2628
	s_cselect_b32 s44, s44, 0                                  // 000000005A6C: 852C802C
	ds_read_b128 v[192:195], v12                               // 000000005A70: D9FE0000 C000000C
	ds_read_b128 v[196:199], v12 offset:32                     // 000000005A78: D9FE0020 C400000C
	ds_read_b128 v[200:203], v12 offset:64                     // 000000005A80: D9FE0040 C800000C
	ds_read_b128 v[204:207], v12 offset:96                     // 000000005A88: D9FE0060 CC00000C
	ds_read_b128 v[208:211], v12 offset:128                    // 000000005A90: D9FE0080 D000000C
	ds_read_b128 v[212:215], v12 offset:160                    // 000000005A98: D9FE00A0 D400000C
	ds_read_b128 v[216:219], v12 offset:192                    // 000000005AA0: D9FE00C0 D800000C
	ds_read_b128 v[220:223], v12 offset:224                    // 000000005AA8: D9FE00E0 DC00000C
	s_waitcnt vmcnt(8) lgkmcnt(0)                              // 000000005AB0: BF8C0078
	s_barrier                                                  // 000000005AB4: BF8A0000
	v_perm_b32 v232, v229, v228, s50                           // 000000005AB8: D1ED00E8 00CBC9E5
	v_perm_b32 v234, v229, v228, s49                           // 000000005AC0: D1ED00EA 00C7C9E5
	v_perm_b32 v233, v231, v230, s50                           // 000000005AC8: D1ED00E9 00CBCDE7
	v_perm_b32 v235, v231, v230, s49                           // 000000005AD0: D1ED00EB 00C7CDE7
	s_nop 3                                                    // 000000005AD8: BF800003
	v_mfma_f32_32x32x8_bf16 v[64:79], v[192:193], v[160:161], 0// 000000005ADC: D3E00040 020341C0
	ds_write_b64 v14, v[232:233] offset:17408                  // 000000005AE4: D89A4400 0000E80E
	v_mfma_f32_32x32x8_bf16 v[64:79], v[194:195], v[162:163], v[64:79]// 000000005AEC: D3E00040 050345C2
	ds_write_b64 v14, v[234:235] offset:21568                  // 000000005AF4: D89A5440 0000EA0E
	v_mfma_f32_32x32x8_bf16 v[64:79], v[196:197], v[164:165], v[64:79]// 000000005AFC: D3E00040 050349C4
	v_mfma_f32_32x32x8_bf16 v[64:79], v[198:199], v[166:167], v[64:79]// 000000005B04: D3E00040 05034DC6
	v_mfma_f32_32x32x8_bf16 v[64:79], v[200:201], v[168:169], v[64:79]// 000000005B0C: D3E00040 050351C8
	v_mfma_f32_32x32x8_bf16 v[64:79], v[202:203], v[170:171], v[64:79]// 000000005B14: D3E00040 050355CA
	v_mfma_f32_32x32x8_bf16 v[64:79], v[204:205], v[172:173], v[64:79]// 000000005B1C: D3E00040 050359CC
	s_waitcnt lgkmcnt(0)                                       // 000000005B24: BF8CC07F
	s_barrier                                                  // 000000005B28: BF8A0000
	v_mfma_f32_32x32x8_bf16 v[64:79], v[206:207], v[174:175], v[64:79]// 000000005B2C: D3E00040 05035DCE
	v_mfma_f32_32x32x8_bf16 v[64:79], v[208:209], v[176:177], v[64:79]// 000000005B34: D3E00040 050361D0
	v_mfma_f32_32x32x8_bf16 v[64:79], v[210:211], v[178:179], v[64:79]// 000000005B3C: D3E00040 050365D2
	v_mfma_f32_32x32x8_bf16 v[64:79], v[212:213], v[180:181], v[64:79]// 000000005B44: D3E00040 050369D4
	v_mfma_f32_32x32x8_bf16 v[64:79], v[214:215], v[182:183], v[64:79]// 000000005B4C: D3E00040 05036DD6
	v_mfma_f32_32x32x8_bf16 v[64:79], v[216:217], v[184:185], v[64:79]// 000000005B54: D3E00040 050371D8
	v_mfma_f32_32x32x8_bf16 v[64:79], v[218:219], v[186:187], v[64:79]// 000000005B5C: D3E00040 050375DA
	v_mfma_f32_32x32x8_bf16 v[64:79], v[220:221], v[188:189], v[64:79]// 000000005B64: D3E00040 050379DC
	v_exp_f32_e32 v80, v80                                     // 000000005B6C: 7EA04150
	v_exp_f32_e32 v81, v81                                     // 000000005B70: 7EA24151
	v_exp_f32_e32 v82, v82                                     // 000000005B74: 7EA44152
	v_exp_f32_e32 v83, v83                                     // 000000005B78: 7EA64153
	v_exp_f32_e32 v84, v84                                     // 000000005B7C: 7EA84154
	v_exp_f32_e32 v85, v85                                     // 000000005B80: 7EAA4155
	v_exp_f32_e32 v86, v86                                     // 000000005B84: 7EAC4156
	v_exp_f32_e32 v87, v87                                     // 000000005B88: 7EAE4157
	v_exp_f32_e32 v88, v88                                     // 000000005B8C: 7EB04158
	v_exp_f32_e32 v89, v89                                     // 000000005B90: 7EB24159
	v_exp_f32_e32 v90, v90                                     // 000000005B94: 7EB4415A
	v_exp_f32_e32 v91, v91                                     // 000000005B98: 7EB6415B
	v_exp_f32_e32 v92, v92                                     // 000000005B9C: 7EB8415C
	v_exp_f32_e32 v93, v93                                     // 000000005BA0: 7EBA415D
	v_exp_f32_e32 v94, v94                                     // 000000005BA4: 7EBC415E
	v_exp_f32_e32 v95, v95                                     // 000000005BA8: 7EBE415F
	v_mul_f32_e32 v22, v20, v22                                // 000000005BAC: 0A2C2D14
	v_pk_add_f32 v[38:39], v[80:81], v[82:83]                  // 000000005BB0: D3B24026 1802A550
	v_pk_add_f32 v[38:39], v[84:85], v[38:39]                  // 000000005BB8: D3B24026 18024D54
	v_pk_add_f32 v[38:39], v[86:87], v[38:39]                  // 000000005BC0: D3B24026 18024D56
	v_pk_add_f32 v[38:39], v[88:89], v[38:39]                  // 000000005BC8: D3B24026 18024D58
	v_pk_add_f32 v[38:39], v[90:91], v[38:39]                  // 000000005BD0: D3B24026 18024D5A
	v_pk_add_f32 v[38:39], v[92:93], v[38:39]                  // 000000005BD8: D3B24026 18024D5C
	v_pk_add_f32 v[38:39], v[94:95], v[38:39]                  // 000000005BE0: D3B24026 18024D5E
	v_add_f32_e32 v38, v38, v39                                // 000000005BE8: 024C4F26
	v_add_f32_e32 v22, v38, v22                                // 000000005BEC: 022C2D26
	v_cmp_u_f32_e64 s[70:71], v80, v80                         // 000000005BF0: D0480046 0002A150
	v_bfe_u32 v40, v80, 16, 1                                  // 000000005BF8: D1C80028 02052150
	v_add3_u32 v40, v80, v40, v43                              // 000000005C00: D1FF0028 04AE5150
	v_cndmask_b32_e64 v16, v40, v42, s[70:71]                  // 000000005C08: D1000010 011A5528
	v_lshrrev_b32_e32 v16, 16, v16                             // 000000005C10: 20202090
	v_cmp_u_f32_e64 s[70:71], v81, v81                         // 000000005C14: D0480046 0002A351
	v_bfe_u32 v40, v81, 16, 1                                  // 000000005C1C: D1C80028 02052151
	v_add3_u32 v40, v81, v40, v43                              // 000000005C24: D1FF0028 04AE5151
	v_cndmask_b32_e64 v17, v40, v42, s[70:71]                  // 000000005C2C: D1000011 011A5528
	v_and_or_b32 v80, v17, v41, v16                            // 000000005C34: D2010050 04425311
	v_cmp_u_f32_e64 s[70:71], v82, v82                         // 000000005C3C: D0480046 0002A552
	v_bfe_u32 v40, v82, 16, 1                                  // 000000005C44: D1C80028 02052152
	v_add3_u32 v40, v82, v40, v43                              // 000000005C4C: D1FF0028 04AE5152
	v_cndmask_b32_e64 v16, v40, v42, s[70:71]                  // 000000005C54: D1000010 011A5528
	v_lshrrev_b32_e32 v16, 16, v16                             // 000000005C5C: 20202090
	v_cmp_u_f32_e64 s[70:71], v83, v83                         // 000000005C60: D0480046 0002A753
	v_bfe_u32 v40, v83, 16, 1                                  // 000000005C68: D1C80028 02052153
	v_add3_u32 v40, v83, v40, v43                              // 000000005C70: D1FF0028 04AE5153
	v_cndmask_b32_e64 v17, v40, v42, s[70:71]                  // 000000005C78: D1000011 011A5528
	v_and_or_b32 v81, v17, v41, v16                            // 000000005C80: D2010051 04425311
	v_cmp_u_f32_e64 s[70:71], v84, v84                         // 000000005C88: D0480046 0002A954
	v_bfe_u32 v40, v84, 16, 1                                  // 000000005C90: D1C80028 02052154
	v_add3_u32 v40, v84, v40, v43                              // 000000005C98: D1FF0028 04AE5154
	v_cndmask_b32_e64 v16, v40, v42, s[70:71]                  // 000000005CA0: D1000010 011A5528
	v_lshrrev_b32_e32 v16, 16, v16                             // 000000005CA8: 20202090
	v_cmp_u_f32_e64 s[70:71], v85, v85                         // 000000005CAC: D0480046 0002AB55
	v_bfe_u32 v40, v85, 16, 1                                  // 000000005CB4: D1C80028 02052155
	v_add3_u32 v40, v85, v40, v43                              // 000000005CBC: D1FF0028 04AE5155
	v_cndmask_b32_e64 v17, v40, v42, s[70:71]                  // 000000005CC4: D1000011 011A5528
	v_and_or_b32 v82, v17, v41, v16                            // 000000005CCC: D2010052 04425311
	v_cmp_u_f32_e64 s[70:71], v86, v86                         // 000000005CD4: D0480046 0002AD56
	v_bfe_u32 v40, v86, 16, 1                                  // 000000005CDC: D1C80028 02052156
	v_add3_u32 v40, v86, v40, v43                              // 000000005CE4: D1FF0028 04AE5156
	v_cndmask_b32_e64 v16, v40, v42, s[70:71]                  // 000000005CEC: D1000010 011A5528
	v_lshrrev_b32_e32 v16, 16, v16                             // 000000005CF4: 20202090
	v_cmp_u_f32_e64 s[70:71], v87, v87                         // 000000005CF8: D0480046 0002AF57
	v_bfe_u32 v40, v87, 16, 1                                  // 000000005D00: D1C80028 02052157
	v_add3_u32 v40, v87, v40, v43                              // 000000005D08: D1FF0028 04AE5157
	v_cndmask_b32_e64 v17, v40, v42, s[70:71]                  // 000000005D10: D1000011 011A5528
	v_and_or_b32 v83, v17, v41, v16                            // 000000005D18: D2010053 04425311
	v_cmp_u_f32_e64 s[70:71], v88, v88                         // 000000005D20: D0480046 0002B158
	v_bfe_u32 v40, v88, 16, 1                                  // 000000005D28: D1C80028 02052158
	v_add3_u32 v40, v88, v40, v43                              // 000000005D30: D1FF0028 04AE5158
	v_cndmask_b32_e64 v16, v40, v42, s[70:71]                  // 000000005D38: D1000010 011A5528
	v_lshrrev_b32_e32 v16, 16, v16                             // 000000005D40: 20202090
	v_cmp_u_f32_e64 s[70:71], v89, v89                         // 000000005D44: D0480046 0002B359
	v_bfe_u32 v40, v89, 16, 1                                  // 000000005D4C: D1C80028 02052159
	v_add3_u32 v40, v89, v40, v43                              // 000000005D54: D1FF0028 04AE5159
	v_cndmask_b32_e64 v17, v40, v42, s[70:71]                  // 000000005D5C: D1000011 011A5528
	v_and_or_b32 v84, v17, v41, v16                            // 000000005D64: D2010054 04425311
	v_cmp_u_f32_e64 s[70:71], v90, v90                         // 000000005D6C: D0480046 0002B55A
	v_bfe_u32 v40, v90, 16, 1                                  // 000000005D74: D1C80028 0205215A
	v_add3_u32 v40, v90, v40, v43                              // 000000005D7C: D1FF0028 04AE515A
	v_cndmask_b32_e64 v16, v40, v42, s[70:71]                  // 000000005D84: D1000010 011A5528
	v_lshrrev_b32_e32 v16, 16, v16                             // 000000005D8C: 20202090
	v_cmp_u_f32_e64 s[70:71], v91, v91                         // 000000005D90: D0480046 0002B75B
	v_bfe_u32 v40, v91, 16, 1                                  // 000000005D98: D1C80028 0205215B
	v_add3_u32 v40, v91, v40, v43                              // 000000005DA0: D1FF0028 04AE515B
	v_cndmask_b32_e64 v17, v40, v42, s[70:71]                  // 000000005DA8: D1000011 011A5528
	v_and_or_b32 v85, v17, v41, v16                            // 000000005DB0: D2010055 04425311
	v_cmp_u_f32_e64 s[70:71], v92, v92                         // 000000005DB8: D0480046 0002B95C
	v_bfe_u32 v40, v92, 16, 1                                  // 000000005DC0: D1C80028 0205215C
	v_add3_u32 v40, v92, v40, v43                              // 000000005DC8: D1FF0028 04AE515C
	v_cndmask_b32_e64 v16, v40, v42, s[70:71]                  // 000000005DD0: D1000010 011A5528
	v_lshrrev_b32_e32 v16, 16, v16                             // 000000005DD8: 20202090
	v_cmp_u_f32_e64 s[70:71], v93, v93                         // 000000005DDC: D0480046 0002BB5D
	v_bfe_u32 v40, v93, 16, 1                                  // 000000005DE4: D1C80028 0205215D
	v_add3_u32 v40, v93, v40, v43                              // 000000005DEC: D1FF0028 04AE515D
	v_cndmask_b32_e64 v17, v40, v42, s[70:71]                  // 000000005DF4: D1000011 011A5528
	v_and_or_b32 v86, v17, v41, v16                            // 000000005DFC: D2010056 04425311
	v_cmp_u_f32_e64 s[70:71], v94, v94                         // 000000005E04: D0480046 0002BD5E
	v_bfe_u32 v40, v94, 16, 1                                  // 000000005E0C: D1C80028 0205215E
	v_add3_u32 v40, v94, v40, v43                              // 000000005E14: D1FF0028 04AE515E
	v_cndmask_b32_e64 v16, v40, v42, s[70:71]                  // 000000005E1C: D1000010 011A5528
	v_lshrrev_b32_e32 v16, 16, v16                             // 000000005E24: 20202090
	v_cmp_u_f32_e64 s[70:71], v95, v95                         // 000000005E28: D0480046 0002BF5F
	v_bfe_u32 v40, v95, 16, 1                                  // 000000005E30: D1C80028 0205215F
	v_add3_u32 v40, v95, v40, v43                              // 000000005E38: D1FF0028 04AE515F
	v_cndmask_b32_e64 v17, v40, v42, s[70:71]                  // 000000005E40: D1000011 011A5528
	v_and_or_b32 v87, v17, v41, v16                            // 000000005E48: D2010057 04425311
	v_mfma_f32_32x32x8_bf16 v[64:79], v[222:223], v[190:191], v[64:79]// 000000005E50: D3E00040 05037DDE
	s_barrier                                                  // 000000005E58: BF8A0000
	s_cmp_lt_i32 s52, s54                                      // 000000005E5C: BF043634
	s_cbranch_scc1 label_0B1C                                  // 000000005E60: BF850043
	s_sub_i32 s40, s7, s52                                     // 000000005E64: 81A83407
	v_sub_i32 v16, s40, v30                                    // 000000005E68: D29D0010 00023C28
	v_cmp_lt_i32_e64 s[72:73], 0, v16                          // 000000005E70: D0C10048 00022080
	v_cmp_lt_i32_e64 s[74:75], 1, v16                          // 000000005E78: D0C1004A 00022081
	v_cndmask_b32_e64 v64, v31, v64, s[72:73]                  // 000000005E80: D1000040 0122811F
	v_cndmask_b32_e64 v65, v31, v65, s[74:75]                  // 000000005E88: D1000041 012A831F
	v_cmp_lt_i32_e64 s[72:73], 2, v16                          // 000000005E90: D0C10048 00022082
	v_cmp_lt_i32_e64 s[74:75], 3, v16                          // 000000005E98: D0C1004A 00022083
	v_cndmask_b32_e64 v66, v31, v66, s[72:73]                  // 000000005EA0: D1000042 0122851F
	v_cndmask_b32_e64 v67, v31, v67, s[74:75]                  // 000000005EA8: D1000043 012A871F
	v_cmp_lt_i32_e64 s[72:73], 8, v16                          // 000000005EB0: D0C10048 00022088
	v_cmp_lt_i32_e64 s[74:75], 9, v16                          // 000000005EB8: D0C1004A 00022089
	v_cndmask_b32_e64 v68, v31, v68, s[72:73]                  // 000000005EC0: D1000044 0122891F
	v_cndmask_b32_e64 v69, v31, v69, s[74:75]                  // 000000005EC8: D1000045 012A8B1F
	v_cmp_lt_i32_e64 s[72:73], 10, v16                         // 000000005ED0: D0C10048 0002208A
	v_cmp_lt_i32_e64 s[74:75], 11, v16                         // 000000005ED8: D0C1004A 0002208B
	v_cndmask_b32_e64 v70, v31, v70, s[72:73]                  // 000000005EE0: D1000046 01228D1F
	v_cndmask_b32_e64 v71, v31, v71, s[74:75]                  // 000000005EE8: D1000047 012A8F1F
	v_cmp_lt_i32_e64 s[72:73], 16, v16                         // 000000005EF0: D0C10048 00022090
	v_cmp_lt_i32_e64 s[74:75], 17, v16                         // 000000005EF8: D0C1004A 00022091
	v_cndmask_b32_e64 v72, v31, v72, s[72:73]                  // 000000005F00: D1000048 0122911F
	v_cndmask_b32_e64 v73, v31, v73, s[74:75]                  // 000000005F08: D1000049 012A931F
	v_cmp_lt_i32_e64 s[72:73], 18, v16                         // 000000005F10: D0C10048 00022092
	v_cmp_lt_i32_e64 s[74:75], 19, v16                         // 000000005F18: D0C1004A 00022093
	v_cndmask_b32_e64 v74, v31, v74, s[72:73]                  // 000000005F20: D100004A 0122951F
	v_cndmask_b32_e64 v75, v31, v75, s[74:75]                  // 000000005F28: D100004B 012A971F
	v_cmp_lt_i32_e64 s[72:73], 24, v16                         // 000000005F30: D0C10048 00022098
	v_cmp_lt_i32_e64 s[74:75], 25, v16                         // 000000005F38: D0C1004A 00022099
	v_cndmask_b32_e64 v76, v31, v76, s[72:73]                  // 000000005F40: D100004C 0122991F
	v_cndmask_b32_e64 v77, v31, v77, s[74:75]                  // 000000005F48: D100004D 012A9B1F
	v_cmp_lt_i32_e64 s[72:73], 26, v16                         // 000000005F50: D0C10048 0002209A
	v_cmp_lt_i32_e64 s[74:75], 27, v16                         // 000000005F58: D0C1004A 0002209B
	v_cndmask_b32_e64 v78, v31, v78, s[72:73]                  // 000000005F60: D100004E 01229D1F
	v_cndmask_b32_e64 v79, v31, v79, s[74:75]                  // 000000005F68: D100004F 012A9F1F

0000000000005f70 <label_0B1C>:
	s_nop 0                                                    // 000000005F70: BF800000
	s_mov_b32 m0, s68                                          // 000000005F74: BEFC0044
	buffer_load_dword v4, s[12:15], s60 offen lds              // 000000005F78: E0511000 3C030004
	s_add_u32 m0, 0x880, m0                                    // 000000005F80: 807C7CFF 00000880
	buffer_load_dword v5, s[12:15], s60 offen lds              // 000000005F88: E0511000 3C030005
	s_add_u32 m0, 0x880, m0                                    // 000000005F90: 807C7CFF 00000880
	buffer_load_dword v6, s[12:15], s60 offen lds              // 000000005F98: E0511000 3C030006
	s_add_u32 m0, 0x880, m0                                    // 000000005FA0: 807C7CFF 00000880
	buffer_load_dword v7, s[12:15], s60 offen lds              // 000000005FA8: E0511000 3C030007
	s_add_u32 m0, 0x880, m0                                    // 000000005FB0: 807C7CFF 00000880
	s_add_i32 s60, s43, s60                                    // 000000005FB8: 813C3C2B
	s_nop 0                                                    // 000000005FBC: BF800000
	s_add_u32 s40, 0x80, s39                                   // 000000005FC0: 802827FF 00000080
	s_nop 0                                                    // 000000005FC8: BF800000
	s_cmp_lt_u32 s40, s38                                      // 000000005FCC: BF0A2628
	s_cselect_b32 s43, s43, 0                                  // 000000005FD0: 852B802B
	s_nop 7                                                    // 000000005FD4: BF800007
	ds_read_b64 v[192:193], v13 offset:17408                   // 000000005FD8: D8EC4400 C000000D
	ds_read_b64 v[194:195], v13 offset:18432                   // 000000005FE0: D8EC4800 C200000D
	ds_read_b64 v[196:197], v13 offset:19456                   // 000000005FE8: D8EC4C00 C400000D
	ds_read_b64 v[198:199], v13 offset:20480                   // 000000005FF0: D8EC5000 C600000D
	ds_read_b64 v[200:201], v13 offset:17536                   // 000000005FF8: D8EC4480 C800000D
	ds_read_b64 v[202:203], v13 offset:18560                   // 000000006000: D8EC4880 CA00000D
	ds_read_b64 v[204:205], v13 offset:19584                   // 000000006008: D8EC4C80 CC00000D
	ds_read_b64 v[206:207], v13 offset:20608                   // 000000006010: D8EC5080 CE00000D
	ds_read_b64 v[208:209], v13 offset:17664                   // 000000006018: D8EC4500 D000000D
	ds_read_b64 v[210:211], v13 offset:18688                   // 000000006020: D8EC4900 D200000D
	ds_read_b64 v[212:213], v13 offset:19712                   // 000000006028: D8EC4D00 D400000D
	ds_read_b64 v[214:215], v13 offset:20736                   // 000000006030: D8EC5100 D600000D
	ds_read_b64 v[216:217], v13 offset:17792                   // 000000006038: D8EC4580 D800000D
	ds_read_b64 v[218:219], v13 offset:18816                   // 000000006040: D8EC4980 DA00000D
	ds_read_b64 v[220:221], v13 offset:19840                   // 000000006048: D8EC4D80 DC00000D
	ds_read_b64 v[222:223], v13 offset:20864                   // 000000006050: D8EC5180 DE00000D
	s_nop 0                                                    // 000000006058: BF800000
	s_add_i32 s52, s52, s53                                    // 00000000605C: 81343534
	s_addk_i32 s39, 0x20                                       // 000000006060: B7270020
	s_cmp_lt_i32 s39, s38                                      // 000000006064: BF042627
	s_waitcnt vmcnt(8) lgkmcnt(0)                              // 000000006068: BF8C0078
	s_barrier                                                  // 00000000606C: BF8A0000
	v_max3_f32 v25, v64, v65, v28                              // 000000006070: D1D30019 04728340
	v_max3_f32 v25, v66, v67, v25                              // 000000006078: D1D30019 04668742
	v_max3_f32 v25, v68, v69, v25                              // 000000006080: D1D30019 04668B44
	v_max3_f32 v25, v70, v71, v25                              // 000000006088: D1D30019 04668F46
	v_max3_f32 v25, v72, v73, v25                              // 000000006090: D1D30019 04669348
	v_max3_f32 v25, v74, v75, v25                              // 000000006098: D1D30019 0466974A
	v_max3_f32 v25, v76, v77, v25                              // 0000000060A0: D1D30019 04669B4C
	v_max3_f32 v25, v78, v79, v25                              // 0000000060A8: D1D30019 04669F4E
	v_mfma_f32_32x32x8_bf16 v[96:111], v[192:193], v[80:81], v[96:111]// 0000000060B0: D3E00060 0582A1C0
	ds_permute_b32 v24, v32, v25                               // 0000000060B8: D87C0000 18001920
	v_mfma_f32_32x32x8_bf16 v[96:111], v[194:195], v[82:83], v[96:111]// 0000000060C0: D3E00060 0582A5C2
	v_mfma_f32_32x32x8_bf16 v[96:111], v[196:197], v[84:85], v[96:111]// 0000000060C8: D3E00060 0582A9C4
	v_mfma_f32_32x32x8_bf16 v[96:111], v[198:199], v[86:87], v[96:111]// 0000000060D0: D3E00060 0582ADC6
	v_mfma_f32_32x32x8_bf16 v[112:127], v[200:201], v[80:81], v[112:127]// 0000000060D8: D3E00070 05C2A1C8
	v_mfma_f32_32x32x8_bf16 v[112:127], v[202:203], v[82:83], v[112:127]// 0000000060E0: D3E00070 05C2A5CA
	v_mfma_f32_32x32x8_bf16 v[112:127], v[204:205], v[84:85], v[112:127]// 0000000060E8: D3E00070 05C2A9CC
	v_mfma_f32_32x32x8_bf16 v[112:127], v[206:207], v[86:87], v[112:127]// 0000000060F0: D3E00070 05C2ADCE
	v_mfma_f32_32x32x8_bf16 v[128:143], v[208:209], v[80:81], v[128:143]// 0000000060F8: D3E00080 0602A1D0
	s_waitcnt lgkmcnt(0)                                       // 000000006100: BF8CC07F
	v_mfma_f32_32x32x8_bf16 v[128:143], v[210:211], v[82:83], v[128:143]// 000000006104: D3E00080 0602A5D2
	v_mfma_f32_32x32x8_bf16 v[128:143], v[212:213], v[84:85], v[128:143]// 00000000610C: D3E00080 0602A9D4
	v_mfma_f32_32x32x8_bf16 v[128:143], v[214:215], v[86:87], v[128:143]// 000000006114: D3E00080 0602ADD6
	v_mfma_f32_32x32x8_bf16 v[144:159], v[216:217], v[80:81], v[144:159]// 00000000611C: D3E00090 0642A1D8
	v_mfma_f32_32x32x8_bf16 v[144:159], v[218:219], v[82:83], v[144:159]// 000000006124: D3E00090 0642A5DA
	v_mfma_f32_32x32x8_bf16 v[144:159], v[220:221], v[84:85], v[144:159]// 00000000612C: D3E00090 0642A9DC
	v_mfma_f32_32x32x8_bf16 v[144:159], v[222:223], v[86:87], v[144:159]// 000000006134: D3E00090 0642ADDE
	v_max_f32_e32 v25, v24, v25                                // 00000000613C: 16323318
	v_sub_f32_e32 v20, v28, v25                                // 000000006140: 0428331C
	v_mov_b32_e32 v28, v25                                     // 000000006144: 7E380319
	v_mul_f32_e32 v27, s56, v25                                // 000000006148: 0A363238
	v_mul_f32_e32 v20, s56, v20                                // 00000000614C: 0A282838
	v_exp_f32_e32 v20, v20                                     // 000000006150: 7E284114
	v_add_f32_e64 v36, 0, -v27                                 // 000000006154: D1010024 40023680
	v_mov_b32_e32 v37, v36                                     // 00000000615C: 7E4A0324
	v_pk_fma_f32 v[64:65], v[64:65], s[56:57], v[36:37]        // 000000006160: D3B04040 1C907140
	v_pk_fma_f32 v[66:67], v[66:67], s[56:57], v[36:37]        // 000000006168: D3B04042 1C907142
	v_pk_fma_f32 v[68:69], v[68:69], s[56:57], v[36:37]        // 000000006170: D3B04044 1C907144
	v_pk_fma_f32 v[70:71], v[70:71], s[56:57], v[36:37]        // 000000006178: D3B04046 1C907146
	v_pk_fma_f32 v[72:73], v[72:73], s[56:57], v[36:37]        // 000000006180: D3B04048 1C907148
	v_pk_fma_f32 v[74:75], v[74:75], s[56:57], v[36:37]        // 000000006188: D3B0404A 1C90714A
	v_pk_fma_f32 v[76:77], v[76:77], s[56:57], v[36:37]        // 000000006190: D3B0404C 1C90714C
	v_pk_fma_f32 v[78:79], v[78:79], s[56:57], v[36:37]        // 000000006198: D3B0404E 1C90714E
	v_nop                                                      // 0000000061A0: 7E000000
	v_mov_b32_e32 v21, v20                                     // 0000000061A4: 7E2A0314
	v_mul_f32_e32 v96, v20, v96                                // 0000000061A8: 0AC0C114
	v_mul_f32_e32 v97, v20, v97                                // 0000000061AC: 0AC2C314
	v_pk_mul_f32 v[98:99], v[20:21], v[98:99]                  // 0000000061B0: D3B14062 1802C514
	v_pk_mul_f32 v[100:101], v[20:21], v[100:101]              // 0000000061B8: D3B14064 1802C914
	v_pk_mul_f32 v[102:103], v[20:21], v[102:103]              // 0000000061C0: D3B14066 1802CD14
	v_pk_mul_f32 v[104:105], v[20:21], v[104:105]              // 0000000061C8: D3B14068 1802D114
	v_pk_mul_f32 v[106:107], v[20:21], v[106:107]              // 0000000061D0: D3B1406A 1802D514
	v_pk_mul_f32 v[108:109], v[20:21], v[108:109]              // 0000000061D8: D3B1406C 1802D914
	v_pk_mul_f32 v[110:111], v[20:21], v[110:111]              // 0000000061E0: D3B1406E 1802DD14
	v_pk_mul_f32 v[112:113], v[20:21], v[112:113]              // 0000000061E8: D3B14070 1802E114
	v_pk_mul_f32 v[114:115], v[20:21], v[114:115]              // 0000000061F0: D3B14072 1802E514
	v_pk_mul_f32 v[116:117], v[20:21], v[116:117]              // 0000000061F8: D3B14074 1802E914
	v_pk_mul_f32 v[118:119], v[20:21], v[118:119]              // 000000006200: D3B14076 1802ED14
	v_pk_mul_f32 v[120:121], v[20:21], v[120:121]              // 000000006208: D3B14078 1802F114
	v_pk_mul_f32 v[122:123], v[20:21], v[122:123]              // 000000006210: D3B1407A 1802F514
	v_pk_mul_f32 v[124:125], v[20:21], v[124:125]              // 000000006218: D3B1407C 1802F914
	v_pk_mul_f32 v[126:127], v[20:21], v[126:127]              // 000000006220: D3B1407E 1802FD14
	v_pk_mul_f32 v[128:129], v[20:21], v[128:129]              // 000000006228: D3B14080 18030114
	v_pk_mul_f32 v[130:131], v[20:21], v[130:131]              // 000000006230: D3B14082 18030514
	v_pk_mul_f32 v[132:133], v[20:21], v[132:133]              // 000000006238: D3B14084 18030914
	v_pk_mul_f32 v[134:135], v[20:21], v[134:135]              // 000000006240: D3B14086 18030D14
	v_pk_mul_f32 v[136:137], v[20:21], v[136:137]              // 000000006248: D3B14088 18031114
	v_pk_mul_f32 v[138:139], v[20:21], v[138:139]              // 000000006250: D3B1408A 18031514
	v_pk_mul_f32 v[140:141], v[20:21], v[140:141]              // 000000006258: D3B1408C 18031914
	v_pk_mul_f32 v[142:143], v[20:21], v[142:143]              // 000000006260: D3B1408E 18031D14
	v_pk_mul_f32 v[144:145], v[20:21], v[144:145]              // 000000006268: D3B14090 18032114
	v_pk_mul_f32 v[146:147], v[20:21], v[146:147]              // 000000006270: D3B14092 18032514
	v_pk_mul_f32 v[148:149], v[20:21], v[148:149]              // 000000006278: D3B14094 18032914
	v_pk_mul_f32 v[150:151], v[20:21], v[150:151]              // 000000006280: D3B14096 18032D14
	v_pk_mul_f32 v[152:153], v[20:21], v[152:153]              // 000000006288: D3B14098 18033114
	v_pk_mul_f32 v[154:155], v[20:21], v[154:155]              // 000000006290: D3B1409A 18033514
	v_pk_mul_f32 v[156:157], v[20:21], v[156:157]              // 000000006298: D3B1409C 18033914
	v_pk_mul_f32 v[158:159], v[20:21], v[158:159]              // 0000000062A0: D3B1409E 18033D14
	s_cbranch_scc0 label_0BEC                                  // 0000000062A8: BF840001
	s_branch label_07B0                                        // 0000000062AC: BF82FBC4

00000000000062b0 <label_0BEC>:
	s_add_u32 s40, s38, 31                                     // 0000000062B0: 80289F26
	s_lshr_b32 s40, s40, 5                                     // 0000000062B4: 8F288528
	s_and_b32 s40, 1, s40                                      // 0000000062B8: 86282881
	s_cmp_lt_i32 s40, 1                                        // 0000000062BC: BF048128
	s_cbranch_scc0 label_0CFC                                  // 0000000062C0: BF84010B
	s_waitcnt vmcnt(4)                                         // 0000000062C4: BF8C0F74
	s_barrier                                                  // 0000000062C8: BF8A0000
	v_perm_b32 v232, v229, v228, s50                           // 0000000062CC: D1ED00E8 00CBC9E5
	v_perm_b32 v234, v229, v228, s49                           // 0000000062D4: D1ED00EA 00C7C9E5
	v_perm_b32 v233, v231, v230, s50                           // 0000000062DC: D1ED00E9 00CBCDE7
	v_perm_b32 v235, v231, v230, s49                           // 0000000062E4: D1ED00EB 00C7CDE7
	ds_write_b64 v14, v[232:233] offset:17408                  // 0000000062EC: D89A4400 0000E80E
	ds_write_b64 v14, v[234:235] offset:21568                  // 0000000062F4: D89A5440 0000EA0E
	s_waitcnt lgkmcnt(0)                                       // 0000000062FC: BF8CC07F
	s_barrier                                                  // 000000006300: BF8A0000
	ds_read_b64 v[192:193], v13 offset:17408                   // 000000006304: D8EC4400 C000000D
	ds_read_b64 v[194:195], v13 offset:18432                   // 00000000630C: D8EC4800 C200000D
	ds_read_b64 v[196:197], v13 offset:19456                   // 000000006314: D8EC4C00 C400000D
	ds_read_b64 v[198:199], v13 offset:20480                   // 00000000631C: D8EC5000 C600000D
	ds_read_b64 v[200:201], v13 offset:17536                   // 000000006324: D8EC4480 C800000D
	ds_read_b64 v[202:203], v13 offset:18560                   // 00000000632C: D8EC4880 CA00000D
	ds_read_b64 v[204:205], v13 offset:19584                   // 000000006334: D8EC4C80 CC00000D
	ds_read_b64 v[206:207], v13 offset:20608                   // 00000000633C: D8EC5080 CE00000D
	ds_read_b64 v[208:209], v13 offset:17664                   // 000000006344: D8EC4500 D000000D
	ds_read_b64 v[210:211], v13 offset:18688                   // 00000000634C: D8EC4900 D200000D
	ds_read_b64 v[212:213], v13 offset:19712                   // 000000006354: D8EC4D00 D400000D
	ds_read_b64 v[214:215], v13 offset:20736                   // 00000000635C: D8EC5100 D600000D
	ds_read_b64 v[216:217], v13 offset:17792                   // 000000006364: D8EC4580 D800000D
	ds_read_b64 v[218:219], v13 offset:18816                   // 00000000636C: D8EC4980 DA00000D
	ds_read_b64 v[220:221], v13 offset:19840                   // 000000006374: D8EC4D80 DC00000D
	ds_read_b64 v[222:223], v13 offset:20864                   // 00000000637C: D8EC5180 DE00000D
	v_exp_f32_e32 v80, v80                                     // 000000006384: 7EA04150
	v_exp_f32_e32 v81, v81                                     // 000000006388: 7EA24151
	v_exp_f32_e32 v82, v82                                     // 00000000638C: 7EA44152
	v_exp_f32_e32 v83, v83                                     // 000000006390: 7EA64153
	v_exp_f32_e32 v84, v84                                     // 000000006394: 7EA84154
	v_exp_f32_e32 v85, v85                                     // 000000006398: 7EAA4155
	v_exp_f32_e32 v86, v86                                     // 00000000639C: 7EAC4156
	v_exp_f32_e32 v87, v87                                     // 0000000063A0: 7EAE4157
	v_exp_f32_e32 v88, v88                                     // 0000000063A4: 7EB04158
	v_exp_f32_e32 v89, v89                                     // 0000000063A8: 7EB24159
	v_exp_f32_e32 v90, v90                                     // 0000000063AC: 7EB4415A
	v_exp_f32_e32 v91, v91                                     // 0000000063B0: 7EB6415B
	v_exp_f32_e32 v92, v92                                     // 0000000063B4: 7EB8415C
	v_exp_f32_e32 v93, v93                                     // 0000000063B8: 7EBA415D
	v_exp_f32_e32 v94, v94                                     // 0000000063BC: 7EBC415E
	v_exp_f32_e32 v95, v95                                     // 0000000063C0: 7EBE415F
	v_mul_f32_e32 v22, v20, v22                                // 0000000063C4: 0A2C2D14
	v_pk_add_f32 v[38:39], v[80:81], v[82:83]                  // 0000000063C8: D3B24026 1802A550
	v_pk_add_f32 v[38:39], v[84:85], v[38:39]                  // 0000000063D0: D3B24026 18024D54
	v_pk_add_f32 v[38:39], v[86:87], v[38:39]                  // 0000000063D8: D3B24026 18024D56
	v_pk_add_f32 v[38:39], v[88:89], v[38:39]                  // 0000000063E0: D3B24026 18024D58
	v_pk_add_f32 v[38:39], v[90:91], v[38:39]                  // 0000000063E8: D3B24026 18024D5A
	v_pk_add_f32 v[38:39], v[92:93], v[38:39]                  // 0000000063F0: D3B24026 18024D5C
	v_pk_add_f32 v[38:39], v[94:95], v[38:39]                  // 0000000063F8: D3B24026 18024D5E
	v_add_f32_e32 v38, v38, v39                                // 000000006400: 024C4F26
	v_add_f32_e32 v22, v38, v22                                // 000000006404: 022C2D26
	v_cmp_u_f32_e64 s[70:71], v80, v80                         // 000000006408: D0480046 0002A150
	v_bfe_u32 v40, v80, 16, 1                                  // 000000006410: D1C80028 02052150
	v_add3_u32 v40, v80, v40, v43                              // 000000006418: D1FF0028 04AE5150
	v_cndmask_b32_e64 v16, v40, v42, s[70:71]                  // 000000006420: D1000010 011A5528
	v_lshrrev_b32_e32 v16, 16, v16                             // 000000006428: 20202090
	v_cmp_u_f32_e64 s[70:71], v81, v81                         // 00000000642C: D0480046 0002A351
	v_bfe_u32 v40, v81, 16, 1                                  // 000000006434: D1C80028 02052151
	v_add3_u32 v40, v81, v40, v43                              // 00000000643C: D1FF0028 04AE5151
	v_cndmask_b32_e64 v17, v40, v42, s[70:71]                  // 000000006444: D1000011 011A5528
	v_and_or_b32 v80, v17, v41, v16                            // 00000000644C: D2010050 04425311
	v_cmp_u_f32_e64 s[70:71], v82, v82                         // 000000006454: D0480046 0002A552
	v_bfe_u32 v40, v82, 16, 1                                  // 00000000645C: D1C80028 02052152
	v_add3_u32 v40, v82, v40, v43                              // 000000006464: D1FF0028 04AE5152
	v_cndmask_b32_e64 v16, v40, v42, s[70:71]                  // 00000000646C: D1000010 011A5528
	v_lshrrev_b32_e32 v16, 16, v16                             // 000000006474: 20202090
	v_cmp_u_f32_e64 s[70:71], v83, v83                         // 000000006478: D0480046 0002A753
	v_bfe_u32 v40, v83, 16, 1                                  // 000000006480: D1C80028 02052153
	v_add3_u32 v40, v83, v40, v43                              // 000000006488: D1FF0028 04AE5153
	v_cndmask_b32_e64 v17, v40, v42, s[70:71]                  // 000000006490: D1000011 011A5528
	v_and_or_b32 v81, v17, v41, v16                            // 000000006498: D2010051 04425311
	v_cmp_u_f32_e64 s[70:71], v84, v84                         // 0000000064A0: D0480046 0002A954
	v_bfe_u32 v40, v84, 16, 1                                  // 0000000064A8: D1C80028 02052154
	v_add3_u32 v40, v84, v40, v43                              // 0000000064B0: D1FF0028 04AE5154
	v_cndmask_b32_e64 v16, v40, v42, s[70:71]                  // 0000000064B8: D1000010 011A5528
	v_lshrrev_b32_e32 v16, 16, v16                             // 0000000064C0: 20202090
	v_cmp_u_f32_e64 s[70:71], v85, v85                         // 0000000064C4: D0480046 0002AB55
	v_bfe_u32 v40, v85, 16, 1                                  // 0000000064CC: D1C80028 02052155
	v_add3_u32 v40, v85, v40, v43                              // 0000000064D4: D1FF0028 04AE5155
	v_cndmask_b32_e64 v17, v40, v42, s[70:71]                  // 0000000064DC: D1000011 011A5528
	v_and_or_b32 v82, v17, v41, v16                            // 0000000064E4: D2010052 04425311
	v_cmp_u_f32_e64 s[70:71], v86, v86                         // 0000000064EC: D0480046 0002AD56
	v_bfe_u32 v40, v86, 16, 1                                  // 0000000064F4: D1C80028 02052156
	v_add3_u32 v40, v86, v40, v43                              // 0000000064FC: D1FF0028 04AE5156
	v_cndmask_b32_e64 v16, v40, v42, s[70:71]                  // 000000006504: D1000010 011A5528
	v_lshrrev_b32_e32 v16, 16, v16                             // 00000000650C: 20202090
	v_cmp_u_f32_e64 s[70:71], v87, v87                         // 000000006510: D0480046 0002AF57
	v_bfe_u32 v40, v87, 16, 1                                  // 000000006518: D1C80028 02052157
	v_add3_u32 v40, v87, v40, v43                              // 000000006520: D1FF0028 04AE5157
	v_cndmask_b32_e64 v17, v40, v42, s[70:71]                  // 000000006528: D1000011 011A5528
	v_and_or_b32 v83, v17, v41, v16                            // 000000006530: D2010053 04425311
	v_cmp_u_f32_e64 s[70:71], v88, v88                         // 000000006538: D0480046 0002B158
	v_bfe_u32 v40, v88, 16, 1                                  // 000000006540: D1C80028 02052158
	v_add3_u32 v40, v88, v40, v43                              // 000000006548: D1FF0028 04AE5158
	v_cndmask_b32_e64 v16, v40, v42, s[70:71]                  // 000000006550: D1000010 011A5528
	v_lshrrev_b32_e32 v16, 16, v16                             // 000000006558: 20202090
	v_cmp_u_f32_e64 s[70:71], v89, v89                         // 00000000655C: D0480046 0002B359
	v_bfe_u32 v40, v89, 16, 1                                  // 000000006564: D1C80028 02052159
	v_add3_u32 v40, v89, v40, v43                              // 00000000656C: D1FF0028 04AE5159
	v_cndmask_b32_e64 v17, v40, v42, s[70:71]                  // 000000006574: D1000011 011A5528
	v_and_or_b32 v84, v17, v41, v16                            // 00000000657C: D2010054 04425311
	v_cmp_u_f32_e64 s[70:71], v90, v90                         // 000000006584: D0480046 0002B55A
	v_bfe_u32 v40, v90, 16, 1                                  // 00000000658C: D1C80028 0205215A
	v_add3_u32 v40, v90, v40, v43                              // 000000006594: D1FF0028 04AE515A
	v_cndmask_b32_e64 v16, v40, v42, s[70:71]                  // 00000000659C: D1000010 011A5528
	v_lshrrev_b32_e32 v16, 16, v16                             // 0000000065A4: 20202090
	v_cmp_u_f32_e64 s[70:71], v91, v91                         // 0000000065A8: D0480046 0002B75B
	v_bfe_u32 v40, v91, 16, 1                                  // 0000000065B0: D1C80028 0205215B
	v_add3_u32 v40, v91, v40, v43                              // 0000000065B8: D1FF0028 04AE515B
	v_cndmask_b32_e64 v17, v40, v42, s[70:71]                  // 0000000065C0: D1000011 011A5528
	v_and_or_b32 v85, v17, v41, v16                            // 0000000065C8: D2010055 04425311
	v_cmp_u_f32_e64 s[70:71], v92, v92                         // 0000000065D0: D0480046 0002B95C
	v_bfe_u32 v40, v92, 16, 1                                  // 0000000065D8: D1C80028 0205215C
	v_add3_u32 v40, v92, v40, v43                              // 0000000065E0: D1FF0028 04AE515C
	v_cndmask_b32_e64 v16, v40, v42, s[70:71]                  // 0000000065E8: D1000010 011A5528
	v_lshrrev_b32_e32 v16, 16, v16                             // 0000000065F0: 20202090
	v_cmp_u_f32_e64 s[70:71], v93, v93                         // 0000000065F4: D0480046 0002BB5D
	v_bfe_u32 v40, v93, 16, 1                                  // 0000000065FC: D1C80028 0205215D
	v_add3_u32 v40, v93, v40, v43                              // 000000006604: D1FF0028 04AE515D
	v_cndmask_b32_e64 v17, v40, v42, s[70:71]                  // 00000000660C: D1000011 011A5528
	v_and_or_b32 v86, v17, v41, v16                            // 000000006614: D2010056 04425311
	v_cmp_u_f32_e64 s[70:71], v94, v94                         // 00000000661C: D0480046 0002BD5E
	v_bfe_u32 v40, v94, 16, 1                                  // 000000006624: D1C80028 0205215E
	v_add3_u32 v40, v94, v40, v43                              // 00000000662C: D1FF0028 04AE515E
	v_cndmask_b32_e64 v16, v40, v42, s[70:71]                  // 000000006634: D1000010 011A5528
	v_lshrrev_b32_e32 v16, 16, v16                             // 00000000663C: 20202090
	v_cmp_u_f32_e64 s[70:71], v95, v95                         // 000000006640: D0480046 0002BF5F
	v_bfe_u32 v40, v95, 16, 1                                  // 000000006648: D1C80028 0205215F
	v_add3_u32 v40, v95, v40, v43                              // 000000006650: D1FF0028 04AE515F
	v_cndmask_b32_e64 v17, v40, v42, s[70:71]                  // 000000006658: D1000011 011A5528
	v_and_or_b32 v87, v17, v41, v16                            // 000000006660: D2010057 04425311
	s_waitcnt lgkmcnt(0)                                       // 000000006668: BF8CC07F
	v_mfma_f32_32x32x8_bf16 v[96:111], v[192:193], v[80:81], v[96:111]// 00000000666C: D3E00060 0582A1C0
	v_mfma_f32_32x32x8_bf16 v[96:111], v[194:195], v[82:83], v[96:111]// 000000006674: D3E00060 0582A5C2
	v_mfma_f32_32x32x8_bf16 v[96:111], v[196:197], v[84:85], v[96:111]// 00000000667C: D3E00060 0582A9C4
	v_mfma_f32_32x32x8_bf16 v[96:111], v[198:199], v[86:87], v[96:111]// 000000006684: D3E00060 0582ADC6
	v_mfma_f32_32x32x8_bf16 v[112:127], v[200:201], v[80:81], v[112:127]// 00000000668C: D3E00070 05C2A1C8
	v_mfma_f32_32x32x8_bf16 v[112:127], v[202:203], v[82:83], v[112:127]// 000000006694: D3E00070 05C2A5CA
	v_mfma_f32_32x32x8_bf16 v[112:127], v[204:205], v[84:85], v[112:127]// 00000000669C: D3E00070 05C2A9CC
	v_mfma_f32_32x32x8_bf16 v[112:127], v[206:207], v[86:87], v[112:127]// 0000000066A4: D3E00070 05C2ADCE
	v_mfma_f32_32x32x8_bf16 v[128:143], v[208:209], v[80:81], v[128:143]// 0000000066AC: D3E00080 0602A1D0
	v_mfma_f32_32x32x8_bf16 v[128:143], v[210:211], v[82:83], v[128:143]// 0000000066B4: D3E00080 0602A5D2
	v_mfma_f32_32x32x8_bf16 v[128:143], v[212:213], v[84:85], v[128:143]// 0000000066BC: D3E00080 0602A9D4
	v_mfma_f32_32x32x8_bf16 v[128:143], v[214:215], v[86:87], v[128:143]// 0000000066C4: D3E00080 0602ADD6
	v_mfma_f32_32x32x8_bf16 v[144:159], v[216:217], v[80:81], v[144:159]// 0000000066CC: D3E00090 0642A1D8
	v_mfma_f32_32x32x8_bf16 v[144:159], v[218:219], v[82:83], v[144:159]// 0000000066D4: D3E00090 0642A5DA
	v_mfma_f32_32x32x8_bf16 v[144:159], v[220:221], v[84:85], v[144:159]// 0000000066DC: D3E00090 0642A9DC
	v_mfma_f32_32x32x8_bf16 v[144:159], v[222:223], v[86:87], v[144:159]// 0000000066E4: D3E00090 0642ADDE
	s_branch label_0E06                                        // 0000000066EC: BF82010A

00000000000066f0 <label_0CFC>:
	s_waitcnt vmcnt(4)                                         // 0000000066F0: BF8C0F74
	s_barrier                                                  // 0000000066F4: BF8A0000
	v_perm_b32 v232, v225, v224, s50                           // 0000000066F8: D1ED00E8 00CBC1E1
	v_perm_b32 v234, v225, v224, s49                           // 000000006700: D1ED00EA 00C7C1E1
	v_perm_b32 v233, v227, v226, s50                           // 000000006708: D1ED00E9 00CBC5E3
	v_perm_b32 v235, v227, v226, s49                           // 000000006710: D1ED00EB 00C7C5E3
	ds_write_b64 v14, v[232:233] offset:17408                  // 000000006718: D89A4400 0000E80E
	ds_write_b64 v14, v[234:235] offset:21568                  // 000000006720: D89A5440 0000EA0E
	s_waitcnt lgkmcnt(0)                                       // 000000006728: BF8CC07F
	s_barrier                                                  // 00000000672C: BF8A0000
	ds_read_b64 v[192:193], v13 offset:17408                   // 000000006730: D8EC4400 C000000D
	ds_read_b64 v[194:195], v13 offset:18432                   // 000000006738: D8EC4800 C200000D
	ds_read_b64 v[196:197], v13 offset:19456                   // 000000006740: D8EC4C00 C400000D
	ds_read_b64 v[198:199], v13 offset:20480                   // 000000006748: D8EC5000 C600000D
	ds_read_b64 v[200:201], v13 offset:17536                   // 000000006750: D8EC4480 C800000D
	ds_read_b64 v[202:203], v13 offset:18560                   // 000000006758: D8EC4880 CA00000D
	ds_read_b64 v[204:205], v13 offset:19584                   // 000000006760: D8EC4C80 CC00000D
	ds_read_b64 v[206:207], v13 offset:20608                   // 000000006768: D8EC5080 CE00000D
	ds_read_b64 v[208:209], v13 offset:17664                   // 000000006770: D8EC4500 D000000D
	ds_read_b64 v[210:211], v13 offset:18688                   // 000000006778: D8EC4900 D200000D
	ds_read_b64 v[212:213], v13 offset:19712                   // 000000006780: D8EC4D00 D400000D
	ds_read_b64 v[214:215], v13 offset:20736                   // 000000006788: D8EC5100 D600000D
	ds_read_b64 v[216:217], v13 offset:17792                   // 000000006790: D8EC4580 D800000D
	ds_read_b64 v[218:219], v13 offset:18816                   // 000000006798: D8EC4980 DA00000D
	ds_read_b64 v[220:221], v13 offset:19840                   // 0000000067A0: D8EC4D80 DC00000D
	ds_read_b64 v[222:223], v13 offset:20864                   // 0000000067A8: D8EC5180 DE00000D
	v_exp_f32_e32 v64, v64                                     // 0000000067B0: 7E804140
	v_exp_f32_e32 v65, v65                                     // 0000000067B4: 7E824141
	v_exp_f32_e32 v66, v66                                     // 0000000067B8: 7E844142
	v_exp_f32_e32 v67, v67                                     // 0000000067BC: 7E864143
	v_exp_f32_e32 v68, v68                                     // 0000000067C0: 7E884144
	v_exp_f32_e32 v69, v69                                     // 0000000067C4: 7E8A4145
	v_exp_f32_e32 v70, v70                                     // 0000000067C8: 7E8C4146
	v_exp_f32_e32 v71, v71                                     // 0000000067CC: 7E8E4147
	v_exp_f32_e32 v72, v72                                     // 0000000067D0: 7E904148
	v_exp_f32_e32 v73, v73                                     // 0000000067D4: 7E924149
	v_exp_f32_e32 v74, v74                                     // 0000000067D8: 7E94414A
	v_exp_f32_e32 v75, v75                                     // 0000000067DC: 7E96414B
	v_exp_f32_e32 v76, v76                                     // 0000000067E0: 7E98414C
	v_exp_f32_e32 v77, v77                                     // 0000000067E4: 7E9A414D
	v_exp_f32_e32 v78, v78                                     // 0000000067E8: 7E9C414E
	v_exp_f32_e32 v79, v79                                     // 0000000067EC: 7E9E414F
	v_mul_f32_e32 v22, v20, v22                                // 0000000067F0: 0A2C2D14
	v_pk_add_f32 v[38:39], v[64:65], v[66:67]                  // 0000000067F4: D3B24026 18028540
	v_pk_add_f32 v[38:39], v[68:69], v[38:39]                  // 0000000067FC: D3B24026 18024D44
	v_pk_add_f32 v[38:39], v[70:71], v[38:39]                  // 000000006804: D3B24026 18024D46
	v_pk_add_f32 v[38:39], v[72:73], v[38:39]                  // 00000000680C: D3B24026 18024D48
	v_pk_add_f32 v[38:39], v[74:75], v[38:39]                  // 000000006814: D3B24026 18024D4A
	v_pk_add_f32 v[38:39], v[76:77], v[38:39]                  // 00000000681C: D3B24026 18024D4C
	v_pk_add_f32 v[38:39], v[78:79], v[38:39]                  // 000000006824: D3B24026 18024D4E
	v_add_f32_e32 v38, v38, v39                                // 00000000682C: 024C4F26
	v_add_f32_e32 v22, v38, v22                                // 000000006830: 022C2D26
	v_cmp_u_f32_e64 s[70:71], v64, v64                         // 000000006834: D0480046 00028140
	v_bfe_u32 v40, v64, 16, 1                                  // 00000000683C: D1C80028 02052140
	v_add3_u32 v40, v64, v40, v43                              // 000000006844: D1FF0028 04AE5140
	v_cndmask_b32_e64 v16, v40, v42, s[70:71]                  // 00000000684C: D1000010 011A5528
	v_lshrrev_b32_e32 v16, 16, v16                             // 000000006854: 20202090
	v_cmp_u_f32_e64 s[70:71], v65, v65                         // 000000006858: D0480046 00028341
	v_bfe_u32 v40, v65, 16, 1                                  // 000000006860: D1C80028 02052141
	v_add3_u32 v40, v65, v40, v43                              // 000000006868: D1FF0028 04AE5141
	v_cndmask_b32_e64 v17, v40, v42, s[70:71]                  // 000000006870: D1000011 011A5528
	v_and_or_b32 v64, v17, v41, v16                            // 000000006878: D2010040 04425311
	v_cmp_u_f32_e64 s[70:71], v66, v66                         // 000000006880: D0480046 00028542
	v_bfe_u32 v40, v66, 16, 1                                  // 000000006888: D1C80028 02052142
	v_add3_u32 v40, v66, v40, v43                              // 000000006890: D1FF0028 04AE5142
	v_cndmask_b32_e64 v16, v40, v42, s[70:71]                  // 000000006898: D1000010 011A5528
	v_lshrrev_b32_e32 v16, 16, v16                             // 0000000068A0: 20202090
	v_cmp_u_f32_e64 s[70:71], v67, v67                         // 0000000068A4: D0480046 00028743
	v_bfe_u32 v40, v67, 16, 1                                  // 0000000068AC: D1C80028 02052143
	v_add3_u32 v40, v67, v40, v43                              // 0000000068B4: D1FF0028 04AE5143
	v_cndmask_b32_e64 v17, v40, v42, s[70:71]                  // 0000000068BC: D1000011 011A5528
	v_and_or_b32 v65, v17, v41, v16                            // 0000000068C4: D2010041 04425311
	v_cmp_u_f32_e64 s[70:71], v68, v68                         // 0000000068CC: D0480046 00028944
	v_bfe_u32 v40, v68, 16, 1                                  // 0000000068D4: D1C80028 02052144
	v_add3_u32 v40, v68, v40, v43                              // 0000000068DC: D1FF0028 04AE5144
	v_cndmask_b32_e64 v16, v40, v42, s[70:71]                  // 0000000068E4: D1000010 011A5528
	v_lshrrev_b32_e32 v16, 16, v16                             // 0000000068EC: 20202090
	v_cmp_u_f32_e64 s[70:71], v69, v69                         // 0000000068F0: D0480046 00028B45
	v_bfe_u32 v40, v69, 16, 1                                  // 0000000068F8: D1C80028 02052145
	v_add3_u32 v40, v69, v40, v43                              // 000000006900: D1FF0028 04AE5145
	v_cndmask_b32_e64 v17, v40, v42, s[70:71]                  // 000000006908: D1000011 011A5528
	v_and_or_b32 v66, v17, v41, v16                            // 000000006910: D2010042 04425311
	v_cmp_u_f32_e64 s[70:71], v70, v70                         // 000000006918: D0480046 00028D46
	v_bfe_u32 v40, v70, 16, 1                                  // 000000006920: D1C80028 02052146
	v_add3_u32 v40, v70, v40, v43                              // 000000006928: D1FF0028 04AE5146
	v_cndmask_b32_e64 v16, v40, v42, s[70:71]                  // 000000006930: D1000010 011A5528
	v_lshrrev_b32_e32 v16, 16, v16                             // 000000006938: 20202090
	v_cmp_u_f32_e64 s[70:71], v71, v71                         // 00000000693C: D0480046 00028F47
	v_bfe_u32 v40, v71, 16, 1                                  // 000000006944: D1C80028 02052147
	v_add3_u32 v40, v71, v40, v43                              // 00000000694C: D1FF0028 04AE5147
	v_cndmask_b32_e64 v17, v40, v42, s[70:71]                  // 000000006954: D1000011 011A5528
	v_and_or_b32 v67, v17, v41, v16                            // 00000000695C: D2010043 04425311
	v_cmp_u_f32_e64 s[70:71], v72, v72                         // 000000006964: D0480046 00029148
	v_bfe_u32 v40, v72, 16, 1                                  // 00000000696C: D1C80028 02052148
	v_add3_u32 v40, v72, v40, v43                              // 000000006974: D1FF0028 04AE5148
	v_cndmask_b32_e64 v16, v40, v42, s[70:71]                  // 00000000697C: D1000010 011A5528
	v_lshrrev_b32_e32 v16, 16, v16                             // 000000006984: 20202090
	v_cmp_u_f32_e64 s[70:71], v73, v73                         // 000000006988: D0480046 00029349
	v_bfe_u32 v40, v73, 16, 1                                  // 000000006990: D1C80028 02052149
	v_add3_u32 v40, v73, v40, v43                              // 000000006998: D1FF0028 04AE5149
	v_cndmask_b32_e64 v17, v40, v42, s[70:71]                  // 0000000069A0: D1000011 011A5528
	v_and_or_b32 v68, v17, v41, v16                            // 0000000069A8: D2010044 04425311
	v_cmp_u_f32_e64 s[70:71], v74, v74                         // 0000000069B0: D0480046 0002954A
	v_bfe_u32 v40, v74, 16, 1                                  // 0000000069B8: D1C80028 0205214A
	v_add3_u32 v40, v74, v40, v43                              // 0000000069C0: D1FF0028 04AE514A
	v_cndmask_b32_e64 v16, v40, v42, s[70:71]                  // 0000000069C8: D1000010 011A5528
	v_lshrrev_b32_e32 v16, 16, v16                             // 0000000069D0: 20202090
	v_cmp_u_f32_e64 s[70:71], v75, v75                         // 0000000069D4: D0480046 0002974B
	v_bfe_u32 v40, v75, 16, 1                                  // 0000000069DC: D1C80028 0205214B
	v_add3_u32 v40, v75, v40, v43                              // 0000000069E4: D1FF0028 04AE514B
	v_cndmask_b32_e64 v17, v40, v42, s[70:71]                  // 0000000069EC: D1000011 011A5528
	v_and_or_b32 v69, v17, v41, v16                            // 0000000069F4: D2010045 04425311
	v_cmp_u_f32_e64 s[70:71], v76, v76                         // 0000000069FC: D0480046 0002994C
	v_bfe_u32 v40, v76, 16, 1                                  // 000000006A04: D1C80028 0205214C
	v_add3_u32 v40, v76, v40, v43                              // 000000006A0C: D1FF0028 04AE514C
	v_cndmask_b32_e64 v16, v40, v42, s[70:71]                  // 000000006A14: D1000010 011A5528
	v_lshrrev_b32_e32 v16, 16, v16                             // 000000006A1C: 20202090
	v_cmp_u_f32_e64 s[70:71], v77, v77                         // 000000006A20: D0480046 00029B4D
	v_bfe_u32 v40, v77, 16, 1                                  // 000000006A28: D1C80028 0205214D
	v_add3_u32 v40, v77, v40, v43                              // 000000006A30: D1FF0028 04AE514D
	v_cndmask_b32_e64 v17, v40, v42, s[70:71]                  // 000000006A38: D1000011 011A5528
	v_and_or_b32 v70, v17, v41, v16                            // 000000006A40: D2010046 04425311
	v_cmp_u_f32_e64 s[70:71], v78, v78                         // 000000006A48: D0480046 00029D4E
	v_bfe_u32 v40, v78, 16, 1                                  // 000000006A50: D1C80028 0205214E
	v_add3_u32 v40, v78, v40, v43                              // 000000006A58: D1FF0028 04AE514E
	v_cndmask_b32_e64 v16, v40, v42, s[70:71]                  // 000000006A60: D1000010 011A5528
	v_lshrrev_b32_e32 v16, 16, v16                             // 000000006A68: 20202090
	v_cmp_u_f32_e64 s[70:71], v79, v79                         // 000000006A6C: D0480046 00029F4F
	v_bfe_u32 v40, v79, 16, 1                                  // 000000006A74: D1C80028 0205214F
	v_add3_u32 v40, v79, v40, v43                              // 000000006A7C: D1FF0028 04AE514F
	v_cndmask_b32_e64 v17, v40, v42, s[70:71]                  // 000000006A84: D1000011 011A5528
	v_and_or_b32 v71, v17, v41, v16                            // 000000006A8C: D2010047 04425311
	s_waitcnt lgkmcnt(0)                                       // 000000006A94: BF8CC07F
	v_mfma_f32_32x32x8_bf16 v[96:111], v[192:193], v[64:65], v[96:111]// 000000006A98: D3E00060 058281C0
	v_mfma_f32_32x32x8_bf16 v[96:111], v[194:195], v[66:67], v[96:111]// 000000006AA0: D3E00060 058285C2
	v_mfma_f32_32x32x8_bf16 v[96:111], v[196:197], v[68:69], v[96:111]// 000000006AA8: D3E00060 058289C4
	v_mfma_f32_32x32x8_bf16 v[96:111], v[198:199], v[70:71], v[96:111]// 000000006AB0: D3E00060 05828DC6
	v_mfma_f32_32x32x8_bf16 v[112:127], v[200:201], v[64:65], v[112:127]// 000000006AB8: D3E00070 05C281C8
	v_mfma_f32_32x32x8_bf16 v[112:127], v[202:203], v[66:67], v[112:127]// 000000006AC0: D3E00070 05C285CA
	v_mfma_f32_32x32x8_bf16 v[112:127], v[204:205], v[68:69], v[112:127]// 000000006AC8: D3E00070 05C289CC
	v_mfma_f32_32x32x8_bf16 v[112:127], v[206:207], v[70:71], v[112:127]// 000000006AD0: D3E00070 05C28DCE
	v_mfma_f32_32x32x8_bf16 v[128:143], v[208:209], v[64:65], v[128:143]// 000000006AD8: D3E00080 060281D0
	v_mfma_f32_32x32x8_bf16 v[128:143], v[210:211], v[66:67], v[128:143]// 000000006AE0: D3E00080 060285D2
	v_mfma_f32_32x32x8_bf16 v[128:143], v[212:213], v[68:69], v[128:143]// 000000006AE8: D3E00080 060289D4
	v_mfma_f32_32x32x8_bf16 v[128:143], v[214:215], v[70:71], v[128:143]// 000000006AF0: D3E00080 06028DD6
	v_mfma_f32_32x32x8_bf16 v[144:159], v[216:217], v[64:65], v[144:159]// 000000006AF8: D3E00090 064281D8
	v_mfma_f32_32x32x8_bf16 v[144:159], v[218:219], v[66:67], v[144:159]// 000000006B00: D3E00090 064285DA
	v_mfma_f32_32x32x8_bf16 v[144:159], v[220:221], v[68:69], v[144:159]// 000000006B08: D3E00090 064289DC
	v_mfma_f32_32x32x8_bf16 v[144:159], v[222:223], v[70:71], v[144:159]// 000000006B10: D3E00090 06428DDE

0000000000006b18 <label_0E06>:
	v_cvt_f32_u32_e32 v16, s62                                 // 000000006B18: 7E200C3E
	s_sub_i32 s40, 0, s62                                      // 000000006B1C: 81A83E80
	v_rcp_iflag_f32_e32 v16, v16                               // 000000006B20: 7E204710
	s_nop 0                                                    // 000000006B24: BF800000
	v_mul_f32_e32 v16, 0x4f7ffffe, v16                         // 000000006B28: 0A2020FF 4F7FFFFE
	v_cvt_u32_f32_e32 v16, v16                                 // 000000006B30: 7E200F10
	v_mul_lo_u32 v17, s40, v16                                 // 000000006B34: D2850011 00022028
	v_mul_hi_u32 v17, v16, v17                                 // 000000006B3C: D2860011 00022310
	v_add_u32_e32 v16, v16, v17                                // 000000006B44: 68202310
	v_mul_hi_u32 v16, s63, v16                                 // 000000006B48: D2860010 0002203F
	v_mul_lo_u32 v17, v16, s62                                 // 000000006B50: D2850011 00007D10
	v_sub_u32_e32 v19, s63, v17                                // 000000006B58: 6A26223F
	v_add_u32_e32 v18, 1, v16                                  // 000000006B5C: 68242081
	v_cmp_le_u32_e32 vcc, s62, v19                             // 000000006B60: 7D96263E
	v_subrev_u32_e32 v17, s62, v19                             // 000000006B64: 6C22263E
	s_nop 0                                                    // 000000006B68: BF800000
	v_cndmask_b32_e32 v16, v16, v18, vcc                       // 000000006B6C: 00202510
	v_cndmask_b32_e32 v19, v19, v17, vcc                       // 000000006B70: 00262313
	v_add_u32_e32 v17, 1, v16                                  // 000000006B74: 68222081
	v_cmp_le_u32_e32 vcc, s62, v19                             // 000000006B78: 7D96263E
	s_nop 1                                                    // 000000006B7C: BF800001
	v_cndmask_b32_e32 v19, v16, v17, vcc                       // 000000006B80: 00262310
	s_nop 3                                                    // 000000006B84: BF800003
	v_readfirstlane_b32 s63, v19                               // 000000006B88: 7E7E0513
	s_nop 3                                                    // 000000006B8C: BF800003
	s_mul_i32 s63, s63, s83                                    // 000000006B90: 923F533F
	v_lshrrev_b32_e32 v16, 3, v0                               // 000000006B94: 20200083
	v_mul_i32_i24_e32 v8, s83, v16                             // 000000006B98: 0C102053
	v_and_b32_e32 v16, 7, v0                                   // 000000006B9C: 26200087
	v_mul_i32_i24_e32 v16, 16, v16                             // 000000006BA0: 0C202090
	v_add_u32_e32 v8, v16, v8                                  // 000000006BA4: 68101110
	s_mul_i32 s40, s5, s83                                     // 000000006BA8: 92285305
	s_mul_i32 s40, s40, 32                                     // 000000006BAC: 9228A028
	s_add_u32 s40, s63, s40                                    // 000000006BB0: 8028283F
	v_add_u32_e32 v8, s40, v8                                  // 000000006BB4: 68101028
	s_mul_i32 s40, s83, 8                                      // 000000006BB8: 92288853
	v_add_u32_e32 v9, s40, v8                                  // 000000006BBC: 68121028
	v_add_u32_e32 v10, s40, v9                                 // 000000006BC0: 68141228
	v_add_u32_e32 v11, s40, v10                                // 000000006BC4: 68161428
	s_mul_i32 s40, s2, 0x100                                   // 000000006BC8: 9228FF02 00000100
	v_and_b32_e32 v3, 31, v0                                   // 000000006BD0: 2606009F
	v_add_u32_e32 v3, s40, v3                                  // 000000006BD4: 68060628
	s_mul_i32 s40, s5, 32                                      // 000000006BD8: 9228A005
	v_add_u32_e32 v3, s40, v3                                  // 000000006BDC: 68060628
	v_lshlrev_b32_e32 v3, 2, v3                                // 000000006BE0: 24060682
	ds_permute_b32 v16, v32, v22                               // 000000006BE4: D87C0000 10001620
	s_waitcnt lgkmcnt(0)                                       // 000000006BEC: BF8CC07F
	v_add_f32_e32 v22, v16, v22                                // 000000006BF0: 022C2D10
	v_mul_f32_e64 v16, v28, s28                                // 000000006BF4: D1050010 0000391C
	v_log_f32_e32 v17, v22                                     // 000000006BFC: 7E224316
	v_cmp_eq_f32_e64 s[40:41], v22, 0                          // 000000006C00: D0420028 00010116
	s_nop 1                                                    // 000000006C08: BF800001
	v_rcp_f32_e32 v22, v22                                     // 000000006C0C: 7E2C4516
	s_nop 1                                                    // 000000006C10: BF800001
	v_cndmask_b32_e64 v22, v22, 0, s[40:41]                    // 000000006C14: D1000016 00A10116
	v_fma_f32 v2, v17, s45, v16                                // 000000006C1C: D1CB0002 04405B11
	v_mov_b32_e32 v23, v22                                     // 000000006C24: 7E2E0316
	v_lshrrev_b32_e32 v16, 5, v0                               // 000000006C28: 20200085
	v_mul_i32_i24_e32 v35, 0x42, v16                           // 000000006C2C: 0C4620FF 00000042
	v_and_b32_e32 v16, 31, v0                                  // 000000006C34: 2620009F
	v_mul_i32_i24_e32 v16, 2, v16                              // 000000006C38: 0C202082
	v_add_u32_e32 v35, v16, v35                                // 000000006C3C: 68464710
	s_mul_i32 s40, s5, 0x420                                   // 000000006C40: 9228FF05 00000420
	v_add_u32_e32 v35, s40, v35                                // 000000006C48: 68464628
	v_lshlrev_b32_e32 v35, 2, v35                              // 000000006C4C: 24464682
	v_lshrrev_b32_e32 v16, 3, v0                               // 000000006C50: 20200083
	v_mul_i32_i24_e32 v34, 2, v16                              // 000000006C54: 0C442082
	v_and_b32_e32 v16, 7, v0                                   // 000000006C58: 26200087
	v_mul_i32_i24_e32 v16, 0x84, v16                           // 000000006C5C: 0C2020FF 00000084
	v_add_u32_e32 v34, v16, v34                                // 000000006C64: 68444510
	s_mul_i32 s40, s5, 0x420                                   // 000000006C68: 9228FF05 00000420
	v_add_u32_e32 v34, s40, v34                                // 000000006C70: 68444428
	v_lshlrev_b32_e32 v34, 2, v34                              // 000000006C74: 24444482
	s_waitcnt vmcnt(0) expcnt(0) lgkmcnt(0)                    // 000000006C78: BF8C0000
	s_barrier                                                  // 000000006C7C: BF8A0000
	v_pk_mul_f32 v[96:97], v[22:23], v[96:97]                  // 000000006C80: D3B14060 1802C116
	v_pk_mul_f32 v[98:99], v[22:23], v[98:99]                  // 000000006C88: D3B14062 1802C516
	v_pk_mul_f32 v[100:101], v[22:23], v[100:101]              // 000000006C90: D3B14064 1802C916
	v_pk_mul_f32 v[102:103], v[22:23], v[102:103]              // 000000006C98: D3B14066 1802CD16
	v_pk_mul_f32 v[104:105], v[22:23], v[104:105]              // 000000006CA0: D3B14068 1802D116
	v_pk_mul_f32 v[106:107], v[22:23], v[106:107]              // 000000006CA8: D3B1406A 1802D516
	v_pk_mul_f32 v[108:109], v[22:23], v[108:109]              // 000000006CB0: D3B1406C 1802D916
	v_pk_mul_f32 v[110:111], v[22:23], v[110:111]              // 000000006CB8: D3B1406E 1802DD16
	v_pk_mul_f32 v[112:113], v[22:23], v[112:113]              // 000000006CC0: D3B14070 1802E116
	v_pk_mul_f32 v[114:115], v[22:23], v[114:115]              // 000000006CC8: D3B14072 1802E516
	v_pk_mul_f32 v[116:117], v[22:23], v[116:117]              // 000000006CD0: D3B14074 1802E916
	v_pk_mul_f32 v[118:119], v[22:23], v[118:119]              // 000000006CD8: D3B14076 1802ED16
	v_pk_mul_f32 v[120:121], v[22:23], v[120:121]              // 000000006CE0: D3B14078 1802F116
	v_pk_mul_f32 v[122:123], v[22:23], v[122:123]              // 000000006CE8: D3B1407A 1802F516
	v_pk_mul_f32 v[124:125], v[22:23], v[124:125]              // 000000006CF0: D3B1407C 1802F916
	v_pk_mul_f32 v[126:127], v[22:23], v[126:127]              // 000000006CF8: D3B1407E 1802FD16
	v_cmp_u_f32_e64 s[70:71], v96, v96                         // 000000006D00: D0480046 0002C160
	v_bfe_u32 v40, v96, 16, 1                                  // 000000006D08: D1C80028 02052160
	v_add3_u32 v40, v96, v40, v43                              // 000000006D10: D1FF0028 04AE5160
	v_cndmask_b32_e64 v16, v40, v42, s[70:71]                  // 000000006D18: D1000010 011A5528
	v_lshrrev_b32_e32 v16, 16, v16                             // 000000006D20: 20202090
	v_cmp_u_f32_e64 s[70:71], v97, v97                         // 000000006D24: D0480046 0002C361
	v_bfe_u32 v40, v97, 16, 1                                  // 000000006D2C: D1C80028 02052161
	v_add3_u32 v40, v97, v40, v43                              // 000000006D34: D1FF0028 04AE5161
	v_cndmask_b32_e64 v17, v40, v42, s[70:71]                  // 000000006D3C: D1000011 011A5528
	v_and_or_b32 v96, v17, v41, v16                            // 000000006D44: D2010060 04425311
	v_cmp_u_f32_e64 s[70:71], v98, v98                         // 000000006D4C: D0480046 0002C562
	v_bfe_u32 v40, v98, 16, 1                                  // 000000006D54: D1C80028 02052162
	v_add3_u32 v40, v98, v40, v43                              // 000000006D5C: D1FF0028 04AE5162
	v_cndmask_b32_e64 v16, v40, v42, s[70:71]                  // 000000006D64: D1000010 011A5528
	v_lshrrev_b32_e32 v16, 16, v16                             // 000000006D6C: 20202090
	v_cmp_u_f32_e64 s[70:71], v99, v99                         // 000000006D70: D0480046 0002C763
	v_bfe_u32 v40, v99, 16, 1                                  // 000000006D78: D1C80028 02052163
	v_add3_u32 v40, v99, v40, v43                              // 000000006D80: D1FF0028 04AE5163
	v_cndmask_b32_e64 v17, v40, v42, s[70:71]                  // 000000006D88: D1000011 011A5528
	v_and_or_b32 v97, v17, v41, v16                            // 000000006D90: D2010061 04425311
	v_cmp_u_f32_e64 s[70:71], v100, v100                       // 000000006D98: D0480046 0002C964
	v_bfe_u32 v40, v100, 16, 1                                 // 000000006DA0: D1C80028 02052164
	v_add3_u32 v40, v100, v40, v43                             // 000000006DA8: D1FF0028 04AE5164
	v_cndmask_b32_e64 v16, v40, v42, s[70:71]                  // 000000006DB0: D1000010 011A5528
	v_lshrrev_b32_e32 v16, 16, v16                             // 000000006DB8: 20202090
	v_cmp_u_f32_e64 s[70:71], v101, v101                       // 000000006DBC: D0480046 0002CB65
	v_bfe_u32 v40, v101, 16, 1                                 // 000000006DC4: D1C80028 02052165
	v_add3_u32 v40, v101, v40, v43                             // 000000006DCC: D1FF0028 04AE5165
	v_cndmask_b32_e64 v17, v40, v42, s[70:71]                  // 000000006DD4: D1000011 011A5528
	v_and_or_b32 v98, v17, v41, v16                            // 000000006DDC: D2010062 04425311
	v_cmp_u_f32_e64 s[70:71], v102, v102                       // 000000006DE4: D0480046 0002CD66
	v_bfe_u32 v40, v102, 16, 1                                 // 000000006DEC: D1C80028 02052166
	v_add3_u32 v40, v102, v40, v43                             // 000000006DF4: D1FF0028 04AE5166
	v_cndmask_b32_e64 v16, v40, v42, s[70:71]                  // 000000006DFC: D1000010 011A5528
	v_lshrrev_b32_e32 v16, 16, v16                             // 000000006E04: 20202090
	v_cmp_u_f32_e64 s[70:71], v103, v103                       // 000000006E08: D0480046 0002CF67
	v_bfe_u32 v40, v103, 16, 1                                 // 000000006E10: D1C80028 02052167
	v_add3_u32 v40, v103, v40, v43                             // 000000006E18: D1FF0028 04AE5167
	v_cndmask_b32_e64 v17, v40, v42, s[70:71]                  // 000000006E20: D1000011 011A5528
	v_and_or_b32 v99, v17, v41, v16                            // 000000006E28: D2010063 04425311
	v_cmp_u_f32_e64 s[70:71], v104, v104                       // 000000006E30: D0480046 0002D168
	v_bfe_u32 v40, v104, 16, 1                                 // 000000006E38: D1C80028 02052168
	v_add3_u32 v40, v104, v40, v43                             // 000000006E40: D1FF0028 04AE5168
	v_cndmask_b32_e64 v16, v40, v42, s[70:71]                  // 000000006E48: D1000010 011A5528
	v_lshrrev_b32_e32 v16, 16, v16                             // 000000006E50: 20202090
	v_cmp_u_f32_e64 s[70:71], v105, v105                       // 000000006E54: D0480046 0002D369
	v_bfe_u32 v40, v105, 16, 1                                 // 000000006E5C: D1C80028 02052169
	v_add3_u32 v40, v105, v40, v43                             // 000000006E64: D1FF0028 04AE5169
	v_cndmask_b32_e64 v17, v40, v42, s[70:71]                  // 000000006E6C: D1000011 011A5528
	v_and_or_b32 v100, v17, v41, v16                           // 000000006E74: D2010064 04425311
	v_cmp_u_f32_e64 s[70:71], v106, v106                       // 000000006E7C: D0480046 0002D56A
	v_bfe_u32 v40, v106, 16, 1                                 // 000000006E84: D1C80028 0205216A
	v_add3_u32 v40, v106, v40, v43                             // 000000006E8C: D1FF0028 04AE516A
	v_cndmask_b32_e64 v16, v40, v42, s[70:71]                  // 000000006E94: D1000010 011A5528
	v_lshrrev_b32_e32 v16, 16, v16                             // 000000006E9C: 20202090
	v_cmp_u_f32_e64 s[70:71], v107, v107                       // 000000006EA0: D0480046 0002D76B
	v_bfe_u32 v40, v107, 16, 1                                 // 000000006EA8: D1C80028 0205216B
	v_add3_u32 v40, v107, v40, v43                             // 000000006EB0: D1FF0028 04AE516B
	v_cndmask_b32_e64 v17, v40, v42, s[70:71]                  // 000000006EB8: D1000011 011A5528
	v_and_or_b32 v101, v17, v41, v16                           // 000000006EC0: D2010065 04425311
	v_cmp_u_f32_e64 s[70:71], v108, v108                       // 000000006EC8: D0480046 0002D96C
	v_bfe_u32 v40, v108, 16, 1                                 // 000000006ED0: D1C80028 0205216C
	v_add3_u32 v40, v108, v40, v43                             // 000000006ED8: D1FF0028 04AE516C
	v_cndmask_b32_e64 v16, v40, v42, s[70:71]                  // 000000006EE0: D1000010 011A5528
	v_lshrrev_b32_e32 v16, 16, v16                             // 000000006EE8: 20202090
	v_cmp_u_f32_e64 s[70:71], v109, v109                       // 000000006EEC: D0480046 0002DB6D
	v_bfe_u32 v40, v109, 16, 1                                 // 000000006EF4: D1C80028 0205216D
	v_add3_u32 v40, v109, v40, v43                             // 000000006EFC: D1FF0028 04AE516D
	v_cndmask_b32_e64 v17, v40, v42, s[70:71]                  // 000000006F04: D1000011 011A5528
	v_and_or_b32 v102, v17, v41, v16                           // 000000006F0C: D2010066 04425311
	v_cmp_u_f32_e64 s[70:71], v110, v110                       // 000000006F14: D0480046 0002DD6E
	v_bfe_u32 v40, v110, 16, 1                                 // 000000006F1C: D1C80028 0205216E
	v_add3_u32 v40, v110, v40, v43                             // 000000006F24: D1FF0028 04AE516E
	v_cndmask_b32_e64 v16, v40, v42, s[70:71]                  // 000000006F2C: D1000010 011A5528
	v_lshrrev_b32_e32 v16, 16, v16                             // 000000006F34: 20202090
	v_cmp_u_f32_e64 s[70:71], v111, v111                       // 000000006F38: D0480046 0002DF6F
	v_bfe_u32 v40, v111, 16, 1                                 // 000000006F40: D1C80028 0205216F
	v_add3_u32 v40, v111, v40, v43                             // 000000006F48: D1FF0028 04AE516F
	v_cndmask_b32_e64 v17, v40, v42, s[70:71]                  // 000000006F50: D1000011 011A5528
	v_and_or_b32 v103, v17, v41, v16                           // 000000006F58: D2010067 04425311
	v_cmp_u_f32_e64 s[70:71], v112, v112                       // 000000006F60: D0480046 0002E170
	v_bfe_u32 v40, v112, 16, 1                                 // 000000006F68: D1C80028 02052170
	v_add3_u32 v40, v112, v40, v43                             // 000000006F70: D1FF0028 04AE5170
	v_cndmask_b32_e64 v16, v40, v42, s[70:71]                  // 000000006F78: D1000010 011A5528
	v_lshrrev_b32_e32 v16, 16, v16                             // 000000006F80: 20202090
	v_cmp_u_f32_e64 s[70:71], v113, v113                       // 000000006F84: D0480046 0002E371
	v_bfe_u32 v40, v113, 16, 1                                 // 000000006F8C: D1C80028 02052171
	v_add3_u32 v40, v113, v40, v43                             // 000000006F94: D1FF0028 04AE5171
	v_cndmask_b32_e64 v17, v40, v42, s[70:71]                  // 000000006F9C: D1000011 011A5528
	v_and_or_b32 v104, v17, v41, v16                           // 000000006FA4: D2010068 04425311
	v_cmp_u_f32_e64 s[70:71], v114, v114                       // 000000006FAC: D0480046 0002E572
	v_bfe_u32 v40, v114, 16, 1                                 // 000000006FB4: D1C80028 02052172
	v_add3_u32 v40, v114, v40, v43                             // 000000006FBC: D1FF0028 04AE5172
	v_cndmask_b32_e64 v16, v40, v42, s[70:71]                  // 000000006FC4: D1000010 011A5528
	v_lshrrev_b32_e32 v16, 16, v16                             // 000000006FCC: 20202090
	v_cmp_u_f32_e64 s[70:71], v115, v115                       // 000000006FD0: D0480046 0002E773
	v_bfe_u32 v40, v115, 16, 1                                 // 000000006FD8: D1C80028 02052173
	v_add3_u32 v40, v115, v40, v43                             // 000000006FE0: D1FF0028 04AE5173
	v_cndmask_b32_e64 v17, v40, v42, s[70:71]                  // 000000006FE8: D1000011 011A5528
	v_and_or_b32 v105, v17, v41, v16                           // 000000006FF0: D2010069 04425311
	v_cmp_u_f32_e64 s[70:71], v116, v116                       // 000000006FF8: D0480046 0002E974
	v_bfe_u32 v40, v116, 16, 1                                 // 000000007000: D1C80028 02052174
	v_add3_u32 v40, v116, v40, v43                             // 000000007008: D1FF0028 04AE5174
	v_cndmask_b32_e64 v16, v40, v42, s[70:71]                  // 000000007010: D1000010 011A5528
	v_lshrrev_b32_e32 v16, 16, v16                             // 000000007018: 20202090
	v_cmp_u_f32_e64 s[70:71], v117, v117                       // 00000000701C: D0480046 0002EB75
	v_bfe_u32 v40, v117, 16, 1                                 // 000000007024: D1C80028 02052175
	v_add3_u32 v40, v117, v40, v43                             // 00000000702C: D1FF0028 04AE5175
	v_cndmask_b32_e64 v17, v40, v42, s[70:71]                  // 000000007034: D1000011 011A5528
	v_and_or_b32 v106, v17, v41, v16                           // 00000000703C: D201006A 04425311
	v_cmp_u_f32_e64 s[70:71], v118, v118                       // 000000007044: D0480046 0002ED76
	v_bfe_u32 v40, v118, 16, 1                                 // 00000000704C: D1C80028 02052176
	v_add3_u32 v40, v118, v40, v43                             // 000000007054: D1FF0028 04AE5176
	v_cndmask_b32_e64 v16, v40, v42, s[70:71]                  // 00000000705C: D1000010 011A5528
	v_lshrrev_b32_e32 v16, 16, v16                             // 000000007064: 20202090
	v_cmp_u_f32_e64 s[70:71], v119, v119                       // 000000007068: D0480046 0002EF77
	v_bfe_u32 v40, v119, 16, 1                                 // 000000007070: D1C80028 02052177
	v_add3_u32 v40, v119, v40, v43                             // 000000007078: D1FF0028 04AE5177
	v_cndmask_b32_e64 v17, v40, v42, s[70:71]                  // 000000007080: D1000011 011A5528
	v_and_or_b32 v107, v17, v41, v16                           // 000000007088: D201006B 04425311
	v_cmp_u_f32_e64 s[70:71], v120, v120                       // 000000007090: D0480046 0002F178
	v_bfe_u32 v40, v120, 16, 1                                 // 000000007098: D1C80028 02052178
	v_add3_u32 v40, v120, v40, v43                             // 0000000070A0: D1FF0028 04AE5178
	v_cndmask_b32_e64 v16, v40, v42, s[70:71]                  // 0000000070A8: D1000010 011A5528
	v_lshrrev_b32_e32 v16, 16, v16                             // 0000000070B0: 20202090
	v_cmp_u_f32_e64 s[70:71], v121, v121                       // 0000000070B4: D0480046 0002F379
	v_bfe_u32 v40, v121, 16, 1                                 // 0000000070BC: D1C80028 02052179
	v_add3_u32 v40, v121, v40, v43                             // 0000000070C4: D1FF0028 04AE5179
	v_cndmask_b32_e64 v17, v40, v42, s[70:71]                  // 0000000070CC: D1000011 011A5528
	v_and_or_b32 v108, v17, v41, v16                           // 0000000070D4: D201006C 04425311
	v_cmp_u_f32_e64 s[70:71], v122, v122                       // 0000000070DC: D0480046 0002F57A
	v_bfe_u32 v40, v122, 16, 1                                 // 0000000070E4: D1C80028 0205217A
	v_add3_u32 v40, v122, v40, v43                             // 0000000070EC: D1FF0028 04AE517A
	v_cndmask_b32_e64 v16, v40, v42, s[70:71]                  // 0000000070F4: D1000010 011A5528
	v_lshrrev_b32_e32 v16, 16, v16                             // 0000000070FC: 20202090
	v_cmp_u_f32_e64 s[70:71], v123, v123                       // 000000007100: D0480046 0002F77B
	v_bfe_u32 v40, v123, 16, 1                                 // 000000007108: D1C80028 0205217B
	v_add3_u32 v40, v123, v40, v43                             // 000000007110: D1FF0028 04AE517B
	v_cndmask_b32_e64 v17, v40, v42, s[70:71]                  // 000000007118: D1000011 011A5528
	v_and_or_b32 v109, v17, v41, v16                           // 000000007120: D201006D 04425311
	v_cmp_u_f32_e64 s[70:71], v124, v124                       // 000000007128: D0480046 0002F97C
	v_bfe_u32 v40, v124, 16, 1                                 // 000000007130: D1C80028 0205217C
	v_add3_u32 v40, v124, v40, v43                             // 000000007138: D1FF0028 04AE517C
	v_cndmask_b32_e64 v16, v40, v42, s[70:71]                  // 000000007140: D1000010 011A5528
	v_lshrrev_b32_e32 v16, 16, v16                             // 000000007148: 20202090
	v_cmp_u_f32_e64 s[70:71], v125, v125                       // 00000000714C: D0480046 0002FB7D
	v_bfe_u32 v40, v125, 16, 1                                 // 000000007154: D1C80028 0205217D
	v_add3_u32 v40, v125, v40, v43                             // 00000000715C: D1FF0028 04AE517D
	v_cndmask_b32_e64 v17, v40, v42, s[70:71]                  // 000000007164: D1000011 011A5528
	v_and_or_b32 v110, v17, v41, v16                           // 00000000716C: D201006E 04425311
	v_cmp_u_f32_e64 s[70:71], v126, v126                       // 000000007174: D0480046 0002FD7E
	v_bfe_u32 v40, v126, 16, 1                                 // 00000000717C: D1C80028 0205217E
	v_add3_u32 v40, v126, v40, v43                             // 000000007184: D1FF0028 04AE517E
	v_cndmask_b32_e64 v16, v40, v42, s[70:71]                  // 00000000718C: D1000010 011A5528
	v_lshrrev_b32_e32 v16, 16, v16                             // 000000007194: 20202090
	v_cmp_u_f32_e64 s[70:71], v127, v127                       // 000000007198: D0480046 0002FF7F
	v_bfe_u32 v40, v127, 16, 1                                 // 0000000071A0: D1C80028 0205217F
	v_add3_u32 v40, v127, v40, v43                             // 0000000071A8: D1FF0028 04AE517F
	v_cndmask_b32_e64 v17, v40, v42, s[70:71]                  // 0000000071B0: D1000011 011A5528
	v_and_or_b32 v111, v17, v41, v16                           // 0000000071B8: D201006F 04425311
	ds_write_b64 v35, v[96:97]                                 // 0000000071C0: D89A0000 00006023
	ds_write_b64 v35, v[98:99] offset:528                      // 0000000071C8: D89A0210 00006223
	ds_write_b64 v35, v[100:101] offset:1056                   // 0000000071D0: D89A0420 00006423
	ds_write_b64 v35, v[102:103] offset:1584                   // 0000000071D8: D89A0630 00006623
	ds_write_b64 v35, v[104:105] offset:2112                   // 0000000071E0: D89A0840 00006823
	ds_write_b64 v35, v[106:107] offset:2640                   // 0000000071E8: D89A0A50 00006A23
	ds_write_b64 v35, v[108:109] offset:3168                   // 0000000071F0: D89A0C60 00006C23
	ds_write_b64 v35, v[110:111] offset:3696                   // 0000000071F8: D89A0E70 00006E23
	s_waitcnt vmcnt(0) expcnt(0) lgkmcnt(0)                    // 000000007200: BF8C0000
	ds_read_b64 v[96:97], v34                                  // 000000007204: D8EC0000 60000022
	ds_read_b64 v[98:99], v34 offset:264                       // 00000000720C: D8EC0108 62000022
	ds_read_b64 v[100:101], v34 offset:64                      // 000000007214: D8EC0040 64000022
	ds_read_b64 v[102:103], v34 offset:328                     // 00000000721C: D8EC0148 66000022
	ds_read_b64 v[104:105], v34 offset:128                     // 000000007224: D8EC0080 68000022
	ds_read_b64 v[106:107], v34 offset:392                     // 00000000722C: D8EC0188 6A000022
	ds_read_b64 v[108:109], v34 offset:192                     // 000000007234: D8EC00C0 6C000022
	ds_read_b64 v[110:111], v34 offset:456                     // 00000000723C: D8EC01C8 6E000022
	s_waitcnt vmcnt(0) expcnt(0) lgkmcnt(0)                    // 000000007244: BF8C0000
	buffer_store_dwordx4 v[96:99], v8, s[20:23], 0 offen       // 000000007248: E07C1000 80056008
	buffer_store_dwordx4 v[100:103], v9, s[20:23], 0 offen     // 000000007250: E07C1000 80056409
	buffer_store_dwordx4 v[104:107], v10, s[20:23], 0 offen    // 000000007258: E07C1000 8005680A
	buffer_store_dwordx4 v[108:111], v11, s[20:23], 0 offen    // 000000007260: E07C1000 80056C0B
	v_pk_mul_f32 v[128:129], v[22:23], v[128:129]              // 000000007268: D3B14080 18030116
	v_pk_mul_f32 v[130:131], v[22:23], v[130:131]              // 000000007270: D3B14082 18030516
	v_pk_mul_f32 v[132:133], v[22:23], v[132:133]              // 000000007278: D3B14084 18030916
	v_pk_mul_f32 v[134:135], v[22:23], v[134:135]              // 000000007280: D3B14086 18030D16
	v_pk_mul_f32 v[136:137], v[22:23], v[136:137]              // 000000007288: D3B14088 18031116
	v_pk_mul_f32 v[138:139], v[22:23], v[138:139]              // 000000007290: D3B1408A 18031516
	v_pk_mul_f32 v[140:141], v[22:23], v[140:141]              // 000000007298: D3B1408C 18031916
	v_pk_mul_f32 v[142:143], v[22:23], v[142:143]              // 0000000072A0: D3B1408E 18031D16
	v_pk_mul_f32 v[144:145], v[22:23], v[144:145]              // 0000000072A8: D3B14090 18032116
	v_pk_mul_f32 v[146:147], v[22:23], v[146:147]              // 0000000072B0: D3B14092 18032516
	v_pk_mul_f32 v[148:149], v[22:23], v[148:149]              // 0000000072B8: D3B14094 18032916
	v_pk_mul_f32 v[150:151], v[22:23], v[150:151]              // 0000000072C0: D3B14096 18032D16
	v_pk_mul_f32 v[152:153], v[22:23], v[152:153]              // 0000000072C8: D3B14098 18033116
	v_pk_mul_f32 v[154:155], v[22:23], v[154:155]              // 0000000072D0: D3B1409A 18033516
	v_pk_mul_f32 v[156:157], v[22:23], v[156:157]              // 0000000072D8: D3B1409C 18033916
	v_pk_mul_f32 v[158:159], v[22:23], v[158:159]              // 0000000072E0: D3B1409E 18033D16
	v_cmp_u_f32_e64 s[70:71], v128, v128                       // 0000000072E8: D0480046 00030180
	v_bfe_u32 v40, v128, 16, 1                                 // 0000000072F0: D1C80028 02052180
	v_add3_u32 v40, v128, v40, v43                             // 0000000072F8: D1FF0028 04AE5180
	v_cndmask_b32_e64 v16, v40, v42, s[70:71]                  // 000000007300: D1000010 011A5528
	v_lshrrev_b32_e32 v16, 16, v16                             // 000000007308: 20202090
	v_cmp_u_f32_e64 s[70:71], v129, v129                       // 00000000730C: D0480046 00030381
	v_bfe_u32 v40, v129, 16, 1                                 // 000000007314: D1C80028 02052181
	v_add3_u32 v40, v129, v40, v43                             // 00000000731C: D1FF0028 04AE5181
	v_cndmask_b32_e64 v17, v40, v42, s[70:71]                  // 000000007324: D1000011 011A5528
	v_and_or_b32 v128, v17, v41, v16                           // 00000000732C: D2010080 04425311
	v_cmp_u_f32_e64 s[70:71], v130, v130                       // 000000007334: D0480046 00030582
	v_bfe_u32 v40, v130, 16, 1                                 // 00000000733C: D1C80028 02052182
	v_add3_u32 v40, v130, v40, v43                             // 000000007344: D1FF0028 04AE5182
	v_cndmask_b32_e64 v16, v40, v42, s[70:71]                  // 00000000734C: D1000010 011A5528
	v_lshrrev_b32_e32 v16, 16, v16                             // 000000007354: 20202090
	v_cmp_u_f32_e64 s[70:71], v131, v131                       // 000000007358: D0480046 00030783
	v_bfe_u32 v40, v131, 16, 1                                 // 000000007360: D1C80028 02052183
	v_add3_u32 v40, v131, v40, v43                             // 000000007368: D1FF0028 04AE5183
	v_cndmask_b32_e64 v17, v40, v42, s[70:71]                  // 000000007370: D1000011 011A5528
	v_and_or_b32 v129, v17, v41, v16                           // 000000007378: D2010081 04425311
	v_cmp_u_f32_e64 s[70:71], v132, v132                       // 000000007380: D0480046 00030984
	v_bfe_u32 v40, v132, 16, 1                                 // 000000007388: D1C80028 02052184
	v_add3_u32 v40, v132, v40, v43                             // 000000007390: D1FF0028 04AE5184
	v_cndmask_b32_e64 v16, v40, v42, s[70:71]                  // 000000007398: D1000010 011A5528
	v_lshrrev_b32_e32 v16, 16, v16                             // 0000000073A0: 20202090
	v_cmp_u_f32_e64 s[70:71], v133, v133                       // 0000000073A4: D0480046 00030B85
	v_bfe_u32 v40, v133, 16, 1                                 // 0000000073AC: D1C80028 02052185
	v_add3_u32 v40, v133, v40, v43                             // 0000000073B4: D1FF0028 04AE5185
	v_cndmask_b32_e64 v17, v40, v42, s[70:71]                  // 0000000073BC: D1000011 011A5528
	v_and_or_b32 v130, v17, v41, v16                           // 0000000073C4: D2010082 04425311
	v_cmp_u_f32_e64 s[70:71], v134, v134                       // 0000000073CC: D0480046 00030D86
	v_bfe_u32 v40, v134, 16, 1                                 // 0000000073D4: D1C80028 02052186
	v_add3_u32 v40, v134, v40, v43                             // 0000000073DC: D1FF0028 04AE5186
	v_cndmask_b32_e64 v16, v40, v42, s[70:71]                  // 0000000073E4: D1000010 011A5528
	v_lshrrev_b32_e32 v16, 16, v16                             // 0000000073EC: 20202090
	v_cmp_u_f32_e64 s[70:71], v135, v135                       // 0000000073F0: D0480046 00030F87
	v_bfe_u32 v40, v135, 16, 1                                 // 0000000073F8: D1C80028 02052187
	v_add3_u32 v40, v135, v40, v43                             // 000000007400: D1FF0028 04AE5187
	v_cndmask_b32_e64 v17, v40, v42, s[70:71]                  // 000000007408: D1000011 011A5528
	v_and_or_b32 v131, v17, v41, v16                           // 000000007410: D2010083 04425311
	v_cmp_u_f32_e64 s[70:71], v136, v136                       // 000000007418: D0480046 00031188
	v_bfe_u32 v40, v136, 16, 1                                 // 000000007420: D1C80028 02052188
	v_add3_u32 v40, v136, v40, v43                             // 000000007428: D1FF0028 04AE5188
	v_cndmask_b32_e64 v16, v40, v42, s[70:71]                  // 000000007430: D1000010 011A5528
	v_lshrrev_b32_e32 v16, 16, v16                             // 000000007438: 20202090
	v_cmp_u_f32_e64 s[70:71], v137, v137                       // 00000000743C: D0480046 00031389
	v_bfe_u32 v40, v137, 16, 1                                 // 000000007444: D1C80028 02052189
	v_add3_u32 v40, v137, v40, v43                             // 00000000744C: D1FF0028 04AE5189
	v_cndmask_b32_e64 v17, v40, v42, s[70:71]                  // 000000007454: D1000011 011A5528
	v_and_or_b32 v132, v17, v41, v16                           // 00000000745C: D2010084 04425311
	v_cmp_u_f32_e64 s[70:71], v138, v138                       // 000000007464: D0480046 0003158A
	v_bfe_u32 v40, v138, 16, 1                                 // 00000000746C: D1C80028 0205218A
	v_add3_u32 v40, v138, v40, v43                             // 000000007474: D1FF0028 04AE518A
	v_cndmask_b32_e64 v16, v40, v42, s[70:71]                  // 00000000747C: D1000010 011A5528
	v_lshrrev_b32_e32 v16, 16, v16                             // 000000007484: 20202090
	v_cmp_u_f32_e64 s[70:71], v139, v139                       // 000000007488: D0480046 0003178B
	v_bfe_u32 v40, v139, 16, 1                                 // 000000007490: D1C80028 0205218B
	v_add3_u32 v40, v139, v40, v43                             // 000000007498: D1FF0028 04AE518B
	v_cndmask_b32_e64 v17, v40, v42, s[70:71]                  // 0000000074A0: D1000011 011A5528
	v_and_or_b32 v133, v17, v41, v16                           // 0000000074A8: D2010085 04425311
	v_cmp_u_f32_e64 s[70:71], v140, v140                       // 0000000074B0: D0480046 0003198C
	v_bfe_u32 v40, v140, 16, 1                                 // 0000000074B8: D1C80028 0205218C
	v_add3_u32 v40, v140, v40, v43                             // 0000000074C0: D1FF0028 04AE518C
	v_cndmask_b32_e64 v16, v40, v42, s[70:71]                  // 0000000074C8: D1000010 011A5528
	v_lshrrev_b32_e32 v16, 16, v16                             // 0000000074D0: 20202090
	v_cmp_u_f32_e64 s[70:71], v141, v141                       // 0000000074D4: D0480046 00031B8D
	v_bfe_u32 v40, v141, 16, 1                                 // 0000000074DC: D1C80028 0205218D
	v_add3_u32 v40, v141, v40, v43                             // 0000000074E4: D1FF0028 04AE518D
	v_cndmask_b32_e64 v17, v40, v42, s[70:71]                  // 0000000074EC: D1000011 011A5528
	v_and_or_b32 v134, v17, v41, v16                           // 0000000074F4: D2010086 04425311
	v_cmp_u_f32_e64 s[70:71], v142, v142                       // 0000000074FC: D0480046 00031D8E
	v_bfe_u32 v40, v142, 16, 1                                 // 000000007504: D1C80028 0205218E
	v_add3_u32 v40, v142, v40, v43                             // 00000000750C: D1FF0028 04AE518E
	v_cndmask_b32_e64 v16, v40, v42, s[70:71]                  // 000000007514: D1000010 011A5528
	v_lshrrev_b32_e32 v16, 16, v16                             // 00000000751C: 20202090
	v_cmp_u_f32_e64 s[70:71], v143, v143                       // 000000007520: D0480046 00031F8F
	v_bfe_u32 v40, v143, 16, 1                                 // 000000007528: D1C80028 0205218F
	v_add3_u32 v40, v143, v40, v43                             // 000000007530: D1FF0028 04AE518F
	v_cndmask_b32_e64 v17, v40, v42, s[70:71]                  // 000000007538: D1000011 011A5528
	v_and_or_b32 v135, v17, v41, v16                           // 000000007540: D2010087 04425311
	v_cmp_u_f32_e64 s[70:71], v144, v144                       // 000000007548: D0480046 00032190
	v_bfe_u32 v40, v144, 16, 1                                 // 000000007550: D1C80028 02052190
	v_add3_u32 v40, v144, v40, v43                             // 000000007558: D1FF0028 04AE5190
	v_cndmask_b32_e64 v16, v40, v42, s[70:71]                  // 000000007560: D1000010 011A5528
	v_lshrrev_b32_e32 v16, 16, v16                             // 000000007568: 20202090
	v_cmp_u_f32_e64 s[70:71], v145, v145                       // 00000000756C: D0480046 00032391
	v_bfe_u32 v40, v145, 16, 1                                 // 000000007574: D1C80028 02052191
	v_add3_u32 v40, v145, v40, v43                             // 00000000757C: D1FF0028 04AE5191
	v_cndmask_b32_e64 v17, v40, v42, s[70:71]                  // 000000007584: D1000011 011A5528
	v_and_or_b32 v136, v17, v41, v16                           // 00000000758C: D2010088 04425311
	v_cmp_u_f32_e64 s[70:71], v146, v146                       // 000000007594: D0480046 00032592
	v_bfe_u32 v40, v146, 16, 1                                 // 00000000759C: D1C80028 02052192
	v_add3_u32 v40, v146, v40, v43                             // 0000000075A4: D1FF0028 04AE5192
	v_cndmask_b32_e64 v16, v40, v42, s[70:71]                  // 0000000075AC: D1000010 011A5528
	v_lshrrev_b32_e32 v16, 16, v16                             // 0000000075B4: 20202090
	v_cmp_u_f32_e64 s[70:71], v147, v147                       // 0000000075B8: D0480046 00032793
	v_bfe_u32 v40, v147, 16, 1                                 // 0000000075C0: D1C80028 02052193
	v_add3_u32 v40, v147, v40, v43                             // 0000000075C8: D1FF0028 04AE5193
	v_cndmask_b32_e64 v17, v40, v42, s[70:71]                  // 0000000075D0: D1000011 011A5528
	v_and_or_b32 v137, v17, v41, v16                           // 0000000075D8: D2010089 04425311
	v_cmp_u_f32_e64 s[70:71], v148, v148                       // 0000000075E0: D0480046 00032994
	v_bfe_u32 v40, v148, 16, 1                                 // 0000000075E8: D1C80028 02052194
	v_add3_u32 v40, v148, v40, v43                             // 0000000075F0: D1FF0028 04AE5194
	v_cndmask_b32_e64 v16, v40, v42, s[70:71]                  // 0000000075F8: D1000010 011A5528
	v_lshrrev_b32_e32 v16, 16, v16                             // 000000007600: 20202090
	v_cmp_u_f32_e64 s[70:71], v149, v149                       // 000000007604: D0480046 00032B95
	v_bfe_u32 v40, v149, 16, 1                                 // 00000000760C: D1C80028 02052195
	v_add3_u32 v40, v149, v40, v43                             // 000000007614: D1FF0028 04AE5195
	v_cndmask_b32_e64 v17, v40, v42, s[70:71]                  // 00000000761C: D1000011 011A5528
	v_and_or_b32 v138, v17, v41, v16                           // 000000007624: D201008A 04425311
	v_cmp_u_f32_e64 s[70:71], v150, v150                       // 00000000762C: D0480046 00032D96
	v_bfe_u32 v40, v150, 16, 1                                 // 000000007634: D1C80028 02052196
	v_add3_u32 v40, v150, v40, v43                             // 00000000763C: D1FF0028 04AE5196
	v_cndmask_b32_e64 v16, v40, v42, s[70:71]                  // 000000007644: D1000010 011A5528
	v_lshrrev_b32_e32 v16, 16, v16                             // 00000000764C: 20202090
	v_cmp_u_f32_e64 s[70:71], v151, v151                       // 000000007650: D0480046 00032F97
	v_bfe_u32 v40, v151, 16, 1                                 // 000000007658: D1C80028 02052197
	v_add3_u32 v40, v151, v40, v43                             // 000000007660: D1FF0028 04AE5197
	v_cndmask_b32_e64 v17, v40, v42, s[70:71]                  // 000000007668: D1000011 011A5528
	v_and_or_b32 v139, v17, v41, v16                           // 000000007670: D201008B 04425311
	v_cmp_u_f32_e64 s[70:71], v152, v152                       // 000000007678: D0480046 00033198
	v_bfe_u32 v40, v152, 16, 1                                 // 000000007680: D1C80028 02052198
	v_add3_u32 v40, v152, v40, v43                             // 000000007688: D1FF0028 04AE5198
	v_cndmask_b32_e64 v16, v40, v42, s[70:71]                  // 000000007690: D1000010 011A5528
	v_lshrrev_b32_e32 v16, 16, v16                             // 000000007698: 20202090
	v_cmp_u_f32_e64 s[70:71], v153, v153                       // 00000000769C: D0480046 00033399
	v_bfe_u32 v40, v153, 16, 1                                 // 0000000076A4: D1C80028 02052199
	v_add3_u32 v40, v153, v40, v43                             // 0000000076AC: D1FF0028 04AE5199
	v_cndmask_b32_e64 v17, v40, v42, s[70:71]                  // 0000000076B4: D1000011 011A5528
	v_and_or_b32 v140, v17, v41, v16                           // 0000000076BC: D201008C 04425311
	v_cmp_u_f32_e64 s[70:71], v154, v154                       // 0000000076C4: D0480046 0003359A
	v_bfe_u32 v40, v154, 16, 1                                 // 0000000076CC: D1C80028 0205219A
	v_add3_u32 v40, v154, v40, v43                             // 0000000076D4: D1FF0028 04AE519A
	v_cndmask_b32_e64 v16, v40, v42, s[70:71]                  // 0000000076DC: D1000010 011A5528
	v_lshrrev_b32_e32 v16, 16, v16                             // 0000000076E4: 20202090
	v_cmp_u_f32_e64 s[70:71], v155, v155                       // 0000000076E8: D0480046 0003379B
	v_bfe_u32 v40, v155, 16, 1                                 // 0000000076F0: D1C80028 0205219B
	v_add3_u32 v40, v155, v40, v43                             // 0000000076F8: D1FF0028 04AE519B
	v_cndmask_b32_e64 v17, v40, v42, s[70:71]                  // 000000007700: D1000011 011A5528
	v_and_or_b32 v141, v17, v41, v16                           // 000000007708: D201008D 04425311
	v_cmp_u_f32_e64 s[70:71], v156, v156                       // 000000007710: D0480046 0003399C
	v_bfe_u32 v40, v156, 16, 1                                 // 000000007718: D1C80028 0205219C
	v_add3_u32 v40, v156, v40, v43                             // 000000007720: D1FF0028 04AE519C
	v_cndmask_b32_e64 v16, v40, v42, s[70:71]                  // 000000007728: D1000010 011A5528
	v_lshrrev_b32_e32 v16, 16, v16                             // 000000007730: 20202090
	v_cmp_u_f32_e64 s[70:71], v157, v157                       // 000000007734: D0480046 00033B9D
	v_bfe_u32 v40, v157, 16, 1                                 // 00000000773C: D1C80028 0205219D
	v_add3_u32 v40, v157, v40, v43                             // 000000007744: D1FF0028 04AE519D
	v_cndmask_b32_e64 v17, v40, v42, s[70:71]                  // 00000000774C: D1000011 011A5528
	v_and_or_b32 v142, v17, v41, v16                           // 000000007754: D201008E 04425311
	v_cmp_u_f32_e64 s[70:71], v158, v158                       // 00000000775C: D0480046 00033D9E
	v_bfe_u32 v40, v158, 16, 1                                 // 000000007764: D1C80028 0205219E
	v_add3_u32 v40, v158, v40, v43                             // 00000000776C: D1FF0028 04AE519E
	v_cndmask_b32_e64 v16, v40, v42, s[70:71]                  // 000000007774: D1000010 011A5528
	v_lshrrev_b32_e32 v16, 16, v16                             // 00000000777C: 20202090
	v_cmp_u_f32_e64 s[70:71], v159, v159                       // 000000007780: D0480046 00033F9F
	v_bfe_u32 v40, v159, 16, 1                                 // 000000007788: D1C80028 0205219F
	v_add3_u32 v40, v159, v40, v43                             // 000000007790: D1FF0028 04AE519F
	v_cndmask_b32_e64 v17, v40, v42, s[70:71]                  // 000000007798: D1000011 011A5528
	v_and_or_b32 v143, v17, v41, v16                           // 0000000077A0: D201008F 04425311
	ds_write_b64 v35, v[128:129]                               // 0000000077A8: D89A0000 00008023
	ds_write_b64 v35, v[130:131] offset:528                    // 0000000077B0: D89A0210 00008223
	ds_write_b64 v35, v[132:133] offset:1056                   // 0000000077B8: D89A0420 00008423
	ds_write_b64 v35, v[134:135] offset:1584                   // 0000000077C0: D89A0630 00008623
	ds_write_b64 v35, v[136:137] offset:2112                   // 0000000077C8: D89A0840 00008823
	ds_write_b64 v35, v[138:139] offset:2640                   // 0000000077D0: D89A0A50 00008A23
	ds_write_b64 v35, v[140:141] offset:3168                   // 0000000077D8: D89A0C60 00008C23
	ds_write_b64 v35, v[142:143] offset:3696                   // 0000000077E0: D89A0E70 00008E23
	s_waitcnt vmcnt(0) expcnt(0) lgkmcnt(0)                    // 0000000077E8: BF8C0000
	ds_read_b64 v[128:129], v34                                // 0000000077EC: D8EC0000 80000022
	ds_read_b64 v[130:131], v34 offset:264                     // 0000000077F4: D8EC0108 82000022
	ds_read_b64 v[132:133], v34 offset:64                      // 0000000077FC: D8EC0040 84000022
	ds_read_b64 v[134:135], v34 offset:328                     // 000000007804: D8EC0148 86000022
	ds_read_b64 v[136:137], v34 offset:128                     // 00000000780C: D8EC0080 88000022
	ds_read_b64 v[138:139], v34 offset:392                     // 000000007814: D8EC0188 8A000022
	ds_read_b64 v[140:141], v34 offset:192                     // 00000000781C: D8EC00C0 8C000022
	ds_read_b64 v[142:143], v34 offset:456                     // 000000007824: D8EC01C8 8E000022
	s_waitcnt vmcnt(0) expcnt(0) lgkmcnt(0)                    // 00000000782C: BF8C0000
	buffer_store_dwordx4 v[128:131], v8, s[20:23], 0 offen offset:128// 000000007830: E07C1080 80058008
	buffer_store_dwordx4 v[132:135], v9, s[20:23], 0 offen offset:128// 000000007838: E07C1080 80058409
	buffer_store_dwordx4 v[136:139], v10, s[20:23], 0 offen offset:128// 000000007840: E07C1080 8005880A
	buffer_store_dwordx4 v[140:143], v11, s[20:23], 0 offen offset:128// 000000007848: E07C1080 80058C0B
	s_cmp_eq_u32 s37, 0                                        // 000000007850: BF068025
	s_cbranch_scc1 label_115C                                  // 000000007854: BF850006
	v_cmp_ge_f32_e64 s[40:41], v2, v31                         // 000000007858: D0460028 00023F02
	v_cndmask_b32_e64 v2, v31, v2, s[40:41]                    // 000000007860: D1000002 00A2051F
	buffer_store_dword v2, v3, s[24:27], 0 offen               // 000000007868: E0701000 80060203

0000000000007870 <label_115C>:
	s_waitcnt vmcnt(0) expcnt(0) lgkmcnt(0)                    // 000000007870: BF8C0000
	s_endpgm                                                   // 000000007874: BF810000
